;; amdgpu-corpus repo=ROCm/aiter kind=harvested arch=n/a opt=n/a

/root/src/amdgpu-assembly/repos/ROCm__aiter/hsa/gfx942/fmha_v3_bwd/bwd_hd128_fp16_causal_a32_psskddv.co:	file format elf64-amdgpu

Disassembly of section .text:

0000000000003e00 <_ZN5aiter38fmha_bwd_hd128_fp16_causal_a32_psskddvE>:
	s_and_b32 s1, s1, 0xffff                                   // 000000003E00: 8601FF01 0000FFFF
	s_load_dwordx2 s[32:33], s[0:1], 0x0                       // 000000003E08: C0060800 00000000
	s_load_dwordx2 s[36:37], s[0:1], 0x10                      // 000000003E10: C0060900 00000010
	s_load_dwordx2 s[40:41], s[0:1], 0x20                      // 000000003E18: C0060A00 00000020
	s_load_dwordx2 s[8:9], s[0:1], 0x30                        // 000000003E20: C0060200 00000030
	s_load_dwordx2 s[12:13], s[0:1], 0x40                      // 000000003E28: C0060300 00000040
	s_load_dwordx2 s[16:17], s[0:1], 0x50                      // 000000003E30: C0060400 00000050
	s_load_dwordx2 s[20:21], s[0:1], 0x60                      // 000000003E38: C0060500 00000060
	s_load_dwordx2 s[24:25], s[0:1], 0x70                      // 000000003E40: C0060600 00000070
	s_load_dwordx2 s[28:29], s[0:1], 0x80                      // 000000003E48: C0060700 00000080
	s_load_dword s47, s[0:1], 0x90                             // 000000003E50: C0020BC0 00000090
	s_load_dword s48, s[0:1], 0xa0                             // 000000003E58: C0020C00 000000A0
	s_load_dword s49, s[0:1], 0xb0                             // 000000003E60: C0020C40 000000B0
	s_load_dword s78, s[0:1], 0xd0                             // 000000003E68: C0021380 000000D0
	s_load_dword s79, s[0:1], 0xe0                             // 000000003E70: C00213C0 000000E0
	s_load_dword s5, s[0:1], 0xf0                              // 000000003E78: C0020140 000000F0
	s_load_dword s44, s[0:1], 0x100                            // 000000003E80: C0020B00 00000100
	s_load_dword s88, s[0:1], 0x110                            // 000000003E88: C0021600 00000110
	s_load_dword s89, s[0:1], 0x120                            // 000000003E90: C0021640 00000120
	s_load_dword s6, s[0:1], 0x130                             // 000000003E98: C0020180 00000130
	s_load_dword s52, s[0:1], 0x140                            // 000000003EA0: C0020D00 00000140
	s_load_dword s50, s[0:1], 0x150                            // 000000003EA8: C0020C80 00000150
	s_load_dword s98, s[0:1], 0x160                            // 000000003EB0: C0021880 00000160
	s_load_dword s72, s[0:1], 0x180                            // 000000003EB8: C0021200 00000180
	s_load_dword s90, s[0:1], 0x190                            // 000000003EC0: C0021680 00000190
	s_load_dword s91, s[0:1], 0x1a0                            // 000000003EC8: C00216C0 000001A0
	s_load_dword s7, s[0:1], 0x1b0                             // 000000003ED0: C00201C0 000001B0
	s_load_dword s92, s[0:1], 0x1c0                            // 000000003ED8: C0021700 000001C0
	s_load_dword s93, s[0:1], 0x1d0                            // 000000003EE0: C0021740 000001D0
	s_load_dword s51, s[0:1], 0x1e0                            // 000000003EE8: C0020CC0 000001E0
	s_load_dword s94, s[0:1], 0x1f0                            // 000000003EF0: C0021780 000001F0
	s_load_dword s95, s[0:1], 0x200                            // 000000003EF8: C00217C0 00000200
	s_load_dword s96, s[0:1], 0x210                            // 000000003F00: C0021800 00000210
	s_load_dword s97, s[0:1], 0x220                            // 000000003F08: C0021840 00000220
	s_load_dword s53, s[0:1], 0x230                            // 000000003F10: C0020D40 00000230
	v_lshrrev_b32_e32 v1, 10, v0                               // 000000003F18: 2002008A
	v_lshrrev_b32_e32 v2, 10, v1                               // 000000003F1C: 2004028A
	v_and_b32_e32 v2, 0x3ff, v2                                // 000000003F20: 260404FF 000003FF
	v_and_b32_e32 v1, 0x3ff, v1                                // 000000003F28: 260202FF 000003FF
	v_and_b32_e32 v0, 0x3ff, v0                                // 000000003F30: 260000FF 000003FF
	v_lshrrev_b32_e32 v3, 6, v0                                // 000000003F38: 20060086
	v_and_b32_e32 v0, 63, v0                                   // 000000003F3C: 260000BF
	s_mov_b32 s2, s2                                           // 000000003F40: BE820002
	s_mov_b32 s3, s3                                           // 000000003F44: BE830003
	s_mov_b32 s4, s4                                           // 000000003F48: BE840004
	v_readfirstlane_b32 s46, v3                                // 000000003F4C: 7E5C0503
	s_waitcnt lgkmcnt(0)                                       // 000000003F50: BF8CC07F
	s_mov_b32 s11, 0x20000                                     // 000000003F54: BE8B00FF 00020000
	s_mov_b32 s15, 0x20000                                     // 000000003F5C: BE8F00FF 00020000
	s_mov_b32 s19, 0x20000                                     // 000000003F64: BE9300FF 00020000
	s_mov_b32 s23, 0x20000                                     // 000000003F6C: BE9700FF 00020000
	s_mov_b32 s27, 0x20000                                     // 000000003F74: BE9B00FF 00020000
	s_mov_b32 s31, 0x20000                                     // 000000003F7C: BE9F00FF 00020000
	s_mov_b32 s35, 0x20000                                     // 000000003F84: BEA300FF 00020000
	s_mov_b32 s39, 0x20000                                     // 000000003F8C: BEA700FF 00020000
	s_mov_b32 s43, 0x20000                                     // 000000003F94: BEAB00FF 00020000
	s_and_b32 s9, s9, 0xffff                                   // 000000003F9C: 8609FF09 0000FFFF
	s_and_b32 s13, s13, 0xffff                                 // 000000003FA4: 860DFF0D 0000FFFF
	s_and_b32 s17, s17, 0xffff                                 // 000000003FAC: 8611FF11 0000FFFF
	s_and_b32 s21, s21, 0xffff                                 // 000000003FB4: 8615FF15 0000FFFF
	s_and_b32 s25, s25, 0xffff                                 // 000000003FBC: 8619FF19 0000FFFF
	s_and_b32 s29, s29, 0xffff                                 // 000000003FC4: 861DFF1D 0000FFFF
	s_and_b32 s33, s33, 0xffff                                 // 000000003FCC: 8621FF21 0000FFFF
	s_and_b32 s37, s37, 0xffff                                 // 000000003FD4: 8625FF25 0000FFFF
	s_and_b32 s41, s41, 0xffff                                 // 000000003FDC: 8629FF29 0000FFFF
	s_or_b32 s9, s9, 0x40000                                   // 000000003FE4: 8709FF09 00040000
	s_or_b32 s13, s13, 0x40000                                 // 000000003FEC: 870DFF0D 00040000
	s_or_b32 s17, s17, 0x40000                                 // 000000003FF4: 8711FF11 00040000
	s_or_b32 s21, s21, 0x40000                                 // 000000003FFC: 8715FF15 00040000
	s_or_b32 s25, s25, 0x40000                                 // 000000004004: 8719FF19 00040000
	s_or_b32 s29, s29, 0x40000                                 // 00000000400C: 871DFF1D 00040000
	s_or_b32 s33, s33, 0x40000                                 // 000000004014: 8721FF21 00040000
	s_or_b32 s37, s37, 0x40000                                 // 00000000401C: 8725FF25 00040000
	s_or_b32 s41, s41, 0x40000                                 // 000000004024: 8729FF29 00040000
	v_accvgpr_write_b32 a255, 0                                // 00000000402C: D3D940FF 18000080
	v_mov_b32_e32 v251, 0                                      // 000000004034: 7FF60280
	s_mov_b32 s71, s3                                          // 000000004038: BEC70003
	v_cvt_f32_u32_e32 v28, s44                                 // 00000000403C: 7E380C2C
	s_sub_i32 s60, 0, s44                                      // 000000004040: 81BC2C80
	v_rcp_iflag_f32_e32 v28, v28                               // 000000004044: 7E38471C
	s_nop 0                                                    // 000000004048: BF800000
	v_mul_f32_e32 v28, 0x4f7ffffe, v28                         // 00000000404C: 0A3838FF 4F7FFFFE
	v_cvt_u32_f32_e32 v28, v28                                 // 000000004054: 7E380F1C
	v_mul_lo_u32 v29, s60, v28                                 // 000000004058: D285001D 0002383C
	v_mul_hi_u32 v29, v28, v29                                 // 000000004060: D286001D 00023B1C
	v_add_u32_e32 v28, v28, v29                                // 000000004068: 68383B1C
	v_mul_hi_u32 v28, s71, v28                                 // 00000000406C: D286001C 00023847
	v_mul_lo_u32 v29, v28, s44                                 // 000000004074: D285001D 0000591C
	v_sub_u32_e32 v31, s71, v29                                // 00000000407C: 6A3E3A47
	v_add_u32_e32 v30, 1, v28                                  // 000000004080: 683C3881
	v_cmp_le_u32_e32 vcc, s44, v31                             // 000000004084: 7D963E2C
	v_subrev_u32_e32 v29, s44, v31                             // 000000004088: 6C3A3E2C
	s_nop 0                                                    // 00000000408C: BF800000
	v_cndmask_b32_e32 v28, v28, v30, vcc                       // 000000004090: 00383D1C
	v_cndmask_b32_e32 v31, v31, v29, vcc                       // 000000004094: 003E3B1F
	v_add_u32_e32 v29, 1, v28                                  // 000000004098: 683A3881
	v_cmp_le_u32_e32 vcc, s44, v31                             // 00000000409C: 7D963E2C
	s_nop 1                                                    // 0000000040A0: BF800001
	v_cndmask_b32_e32 v31, v28, v29, vcc                       // 0000000040A4: 003E3B1C
	s_nop 3                                                    // 0000000040A8: BF800003
	v_readfirstlane_b32 s45, v31                               // 0000000040AC: 7E5A051F
	s_nop 3                                                    // 0000000040B0: BF800003
	s_mul_i32 s61, s45, s88                                    // 0000000040B4: 923D582D
	s_mov_b32 s54, s61                                         // 0000000040B8: BEB6003D
	s_add_u32 s12, s54, s12                                    // 0000000040BC: 800C0C36
	s_addc_u32 s13, 0, s13                                     // 0000000040C0: 820D0D80
	s_mul_i32 s60, s4, s89                                     // 0000000040C4: 923C5904
	s_mul_hi_u32 s61, s4, s89                                  // 0000000040C8: 963D5904
	s_and_b32 s61, s61, 0xffff                                 // 0000000040CC: 863DFF3D 0000FFFF
	s_add_u32 s12, s12, s60                                    // 0000000040D4: 800C3C0C
	s_addc_u32 s13, s13, s61                                   // 0000000040D8: 820D3D0D
	s_mul_i32 s61, s45, s90                                    // 0000000040DC: 923D5A2D
	s_mov_b32 s54, s61                                         // 0000000040E0: BEB6003D
	s_add_u32 s16, s54, s16                                    // 0000000040E4: 80101036
	s_addc_u32 s17, 0, s17                                     // 0000000040E8: 82111180
	s_mul_i32 s60, s4, s91                                     // 0000000040EC: 923C5B04
	s_mul_hi_u32 s61, s4, s91                                  // 0000000040F0: 963D5B04
	s_and_b32 s61, s61, 0xffff                                 // 0000000040F4: 863DFF3D 0000FFFF
	s_add_u32 s16, s16, s60                                    // 0000000040FC: 80103C10
	s_addc_u32 s17, s17, s61                                   // 000000004100: 82113D11
	s_mul_i32 s61, s3, s78                                     // 000000004104: 923D4E03
	s_mov_b32 s55, s61                                         // 000000004108: BEB7003D
	s_add_u32 s8, s55, s8                                      // 00000000410C: 80080837
	s_addc_u32 s9, 0, s9                                       // 000000004110: 82090980
	s_mul_i32 s60, s4, s79                                     // 000000004114: 923C4F04
	s_mul_hi_u32 s61, s4, s79                                  // 000000004118: 963D4F04
	s_and_b32 s61, s61, 0xffff                                 // 00000000411C: 863DFF3D 0000FFFF
	s_add_u32 s8, s8, s60                                      // 000000004124: 80083C08
	s_addc_u32 s9, s9, s61                                     // 000000004128: 82093D09
	s_mul_i32 s61, s3, s92                                     // 00000000412C: 923D5C03
	s_mov_b32 s56, s61                                         // 000000004130: BEB8003D
	s_add_u32 s20, s56, s20                                    // 000000004134: 80141438
	s_addc_u32 s21, 0, s21                                     // 000000004138: 82151580
	s_mul_i32 s60, s4, s93                                     // 00000000413C: 923C5D04
	s_mul_hi_u32 s61, s4, s93                                  // 000000004140: 963D5D04
	s_and_b32 s61, s61, 0xffff                                 // 000000004144: 863DFF3D 0000FFFF
	s_add_u32 s20, s20, s60                                    // 00000000414C: 80143C14
	s_addc_u32 s21, s21, s61                                   // 000000004150: 82153D15
	s_mul_i32 s62, s4, s72                                     // 000000004154: 923E4804
	s_mul_i32 s62, s62, s49                                    // 000000004158: 923E313E
	s_lshl_b32 s62, s62, 2                                     // 00000000415C: 8E3E823E
	s_mul_i32 s61, s3, s49                                     // 000000004160: 923D3103
	s_mul_i32 s61, 4, s61                                      // 000000004164: 923D3D84
	s_add_u32 s65, s61, s62                                    // 000000004168: 80413E3D
	s_mov_b32 s26, s49                                         // 00000000416C: BE9A0031
	s_mov_b32 s30, s49                                         // 000000004170: BE9E0031
	s_add_u32 s24, s65, s24                                    // 000000004174: 80181841
	s_addc_u32 s25, 0, s25                                     // 000000004178: 82191980
	s_add_u32 s28, s65, s28                                    // 00000000417C: 801C1C41
	s_addc_u32 s29, 0, s29                                     // 000000004180: 821D1D80
	s_mul_i32 s61, s3, s94                                     // 000000004184: 923D5E03
	s_mul_i32 s62, s4, s95                                     // 000000004188: 923E5F04
	s_add_u32 s60, s61, s62                                    // 00000000418C: 803C3E3D
	s_mul_hi_u32 s61, s4, s95                                  // 000000004190: 963D5F04
	s_and_b32 s61, s61, 0xffff                                 // 000000004194: 863DFF3D 0000FFFF
	s_add_u32 s36, s60, s36                                    // 00000000419C: 8024243C
	s_addc_u32 s37, s61, s37                                   // 0000000041A0: 8225253D
	s_mul_i32 s60, s50, s52                                    // 0000000041A4: 923C3432
	s_lshr_b32 s60, s60, 2                                     // 0000000041A8: 8F3C823C
	s_mov_b32 s38, s60                                         // 0000000041AC: BEA6003C
	s_mul_i32 s61, s3, s96                                     // 0000000041B0: 923D6003
	s_mul_i32 s62, s4, s97                                     // 0000000041B4: 923E6104
	s_add_u32 s60, s61, s62                                    // 0000000041B8: 803C3E3D
	s_mul_hi_u32 s61, s4, s97                                  // 0000000041BC: 963D6104
	s_and_b32 s61, s61, 0xffff                                 // 0000000041C0: 863DFF3D 0000FFFF
	s_add_u32 s40, s60, s40                                    // 0000000041C8: 8028283C
	s_addc_u32 s41, s61, s41                                   // 0000000041CC: 8229293D
	s_mul_i32 s60, s50, s53                                    // 0000000041D0: 923C3532
	s_lshr_b32 s60, s60, 2                                     // 0000000041D4: 8F3C823C
	s_mov_b32 s42, s60                                         // 0000000041D8: BEAA003C
	s_mul_i32 s60, s98, s65                                    // 0000000041DC: 923C4162
	s_mul_hi_u32 s62, s98, s65                                 // 0000000041E0: 963E4162
	s_and_b32 s62, s62, 0xffff                                 // 0000000041E4: 863EFF3E 0000FFFF
	s_add_u32 s32, s60, s32                                    // 0000000041EC: 8020203C
	s_addc_u32 s33, s62, s33                                   // 0000000041F0: 8221213E
	s_mul_i32 s60, s98, s49                                    // 0000000041F4: 923C3162
	s_lshl_b32 s60, s60, 2                                     // 0000000041F8: 8E3C823C
	s_mov_b32 s34, s60                                         // 0000000041FC: BEA2003C
	s_mov_b32 s80, s8                                          // 000000004200: BED00008
	s_mov_b32 s82, s12                                         // 000000004204: BED2000C
	s_mov_b32 s84, s16                                         // 000000004208: BED40010
	s_mov_b32 s86, s20                                         // 00000000420C: BED60014
	s_mov_b32 s81, s9                                          // 000000004210: BED10009
	s_mov_b32 s83, s13                                         // 000000004214: BED3000D
	s_mov_b32 s85, s17                                         // 000000004218: BED50011
	s_mov_b32 s87, s21                                         // 00000000421C: BED70015
	s_add_u32 s71, 0xbf, s50                                   // 000000004220: 804732FF 000000BF
	s_mov_b32 s74, 0xc0                                        // 000000004228: BECA00FF 000000C0
	v_cvt_f32_u32_e32 v28, s74                                 // 000000004230: 7E380C4A
	s_sub_i32 s60, 0, s74                                      // 000000004234: 81BC4A80
	v_rcp_iflag_f32_e32 v28, v28                               // 000000004238: 7E38471C
	s_nop 0                                                    // 00000000423C: BF800000
	v_mul_f32_e32 v28, 0x4f7ffffe, v28                         // 000000004240: 0A3838FF 4F7FFFFE
	v_cvt_u32_f32_e32 v28, v28                                 // 000000004248: 7E380F1C
	v_mul_lo_u32 v29, s60, v28                                 // 00000000424C: D285001D 0002383C
	v_mul_hi_u32 v29, v28, v29                                 // 000000004254: D286001D 00023B1C
	v_add_u32_e32 v28, v28, v29                                // 00000000425C: 68383B1C
	v_mul_hi_u32 v28, s71, v28                                 // 000000004260: D286001C 00023847
	v_mul_lo_u32 v29, v28, s74                                 // 000000004268: D285001D 0000951C
	v_sub_u32_e32 v31, s71, v29                                // 000000004270: 6A3E3A47
	v_add_u32_e32 v30, 1, v28                                  // 000000004274: 683C3881
	v_cmp_le_u32_e32 vcc, s74, v31                             // 000000004278: 7D963E4A
	v_subrev_u32_e32 v29, s74, v31                             // 00000000427C: 6C3A3E4A
	s_nop 0                                                    // 000000004280: BF800000
	v_cndmask_b32_e32 v28, v28, v30, vcc                       // 000000004284: 00383D1C
	v_cndmask_b32_e32 v31, v31, v29, vcc                       // 000000004288: 003E3B1F
	v_add_u32_e32 v29, 1, v28                                  // 00000000428C: 683A3881
	v_cmp_le_u32_e32 vcc, s74, v31                             // 000000004290: 7D963E4A
	s_nop 1                                                    // 000000004294: BF800001
	v_cndmask_b32_e32 v31, v28, v29, vcc                       // 000000004298: 003E3B1C
	s_nop 3                                                    // 00000000429C: BF800003
	v_readfirstlane_b32 s77, v31                               // 0000000042A0: 7E9A051F
	s_nop 3                                                    // 0000000042A4: BF800003
	v_mov_b32_e32 v28, s47                                     // 0000000042A8: 7E38022F
	v_mul_f32_e32 v28, s48, v28                                // 0000000042AC: 0A383830
	s_mov_b32 s58, s49                                         // 0000000042B0: BEBA0031
	s_mov_b32 s59, 0                                           // 0000000042B4: BEBB0080
	s_mov_b32 s63, 0x5040100                                   // 0000000042B8: BEBF00FF 05040100
	s_mov_b32 s64, 0x7060302                                   // 0000000042C0: BEC000FF 07060302
	v_readfirstlane_b32 s57, v28                               // 0000000042C8: 7E72051C
	v_mov_b32_e32 v30, 0x3020706                               // 0000000042CC: 7E3C02FF 03020706
	v_mov_b32_e32 v28, s63                                     // 0000000042D4: 7E38023F
	v_and_b32_e32 v29, 1, v0                                   // 0000000042D8: 263A0081
	v_cmp_eq_u32_e32 vcc, 1, v29                               // 0000000042DC: 7D943A81
	s_mul_i32 s60, s98, 64                                     // 0000000042E0: 923CC062
	s_mov_b32 s67, s60                                         // 0000000042E4: BEC3003C
	v_cndmask_b32_e32 v15, v28, v30, vcc                       // 0000000042E8: 001E3D1C
	s_cmp_lt_u32 s46, 2                                        // 0000000042EC: BF0A822E
	s_cselect_b32 s24, s24, s28                                // 0000000042F0: 85181C18
	s_cselect_b32 s25, s25, s29                                // 0000000042F4: 85191D19
	s_cselect_b32 s26, s26, s30                                // 0000000042F8: 851A1E1A
	s_cselect_b32 s27, s27, s31                                // 0000000042FC: 851B1F1B
	s_lshr_b32 s60, s46, 1                                     // 000000004300: 8F3C812E
	s_lshl_b32 s60, s60, 8                                     // 000000004304: 8E3C883C
	s_add_u32 s78, 0xc600, s60                                 // 000000004308: 804E3CFF 0000C600
	s_add_u32 s79, 0x200, s78                                  // 000000004310: 804F4EFF 00000200
	s_mov_b32 s75, 0                                           // 000000004318: BECB0080
	s_mov_b32 s76, 1                                           // 00000000431C: BECC0081
	s_lshl_b32 s60, s2, 1                                      // 000000004320: 8E3C8102
	s_add_u32 s60, 1, s60                                      // 000000004324: 803C3C81
	s_cmp_ge_i32 s60, s77                                      // 000000004328: BF034D3C
	s_cselect_b32 s76, s76, 2                                  // 00000000432C: 854C824C
	v_lshrrev_b32_e32 v28, 2, v0                               // 000000004330: 20380082
	v_and_b32_e32 v29, 3, v28                                  // 000000004334: 263A3883
	v_lshrrev_b32_e32 v30, 3, v28                              // 000000004338: 203C3883
	v_lshlrev_b32_e32 v30, 2, v30                              // 00000000433C: 243C3C82
	v_add_u32_e32 v28, v30, v29                                // 000000004340: 68383B1E
	s_lshr_b32 s60, s46, 1                                     // 000000004344: 8F3C812E
	s_sub_i32 s60, 1, s60                                      // 000000004348: 81BC3C81
	v_mul_i32_i24_e64 v29, s60, 8                              // 00000000434C: D106001D 0001103C
	v_mov_b32_e32 v30, s98                                     // 000000004354: 7E3C0262
	v_sub_u32_e64 v30, v30, 64                                 // 000000004358: D135001E 0001811E
	v_lshrrev_b32_e32 v30, 3, v30                              // 000000004360: 203C3C83
	v_add_u32_e32 v29, v30, v29                                // 000000004364: 683A3B1E
	v_cmp_lt_u32_e64 s[88:89], v28, v29                        // 000000004368: D0C90058 00023B1C

0000000000004370 <label_015C>:
	s_mov_b32 m0, s78                                          // 000000004370: BEFC004E
	s_mov_b32 s66, 0                                           // 000000004374: BEC20080
	v_mov_b32_e32 v151, 0xff800000                             // 000000004378: 7F2E02FF FF800000
	s_mov_b32 s74, 0                                           // 000000004380: BECA0080
	s_mul_i32 s68, 4, s5                                       // 000000004384: 92440584
	s_mul_i32 s99, 4, s51                                      // 000000004388: 92633384
	s_mov_b32 s69, 16                                          // 00000000438C: BEC50090
	s_mul_i32 s59, 0xc0, s2                                    // 000000004390: 923B02FF 000000C0
	s_mul_i32 s54, s6, s59                                     // 000000004398: 92363B06
	s_sub_i32 s61, s50, s59                                    // 00000000439C: 81BD3B32
	s_mul_i32 s62, s6, s61                                     // 0000000043A0: 923E3D06
	s_lshr_b32 s62, s62, 2                                     // 0000000043A4: 8F3E823E
	s_mov_b32 s14, s62                                         // 0000000043A8: BE8E003E
	s_add_u32 s12, s54, s82                                    // 0000000043AC: 800C5236
	s_addc_u32 s13, 0, s83                                     // 0000000043B0: 820D5380
	s_mul_i32 s54, s7, s59                                     // 0000000043B4: 92363B07
	s_mul_i32 s62, s7, s61                                     // 0000000043B8: 923E3D07
	s_lshr_b32 s62, s62, 2                                     // 0000000043BC: 8F3E823E
	s_mov_b32 s18, s62                                         // 0000000043C0: BE92003E
	s_add_u32 s16, s54, s84                                    // 0000000043C4: 80105436
	s_addc_u32 s17, 0, s85                                     // 0000000043C8: 82115580
	s_mov_b32 s71, s6                                          // 0000000043CC: BEC70006
	v_lshrrev_b32_e32 v28, 4, v0                               // 0000000043D0: 20380084
	v_and_b32_e32 v29, 1, v28                                  // 0000000043D4: 263A3881
	v_lshlrev_b32_e32 v29, 1, v29                              // 0000000043D8: 243A3A81
	v_mul_i32_i24_e32 v29, s71, v29                            // 0000000043DC: 0C3A3A47
	v_and_b32_e32 v30, 2, v28                                  // 0000000043E0: 263C3882
	v_lshlrev_b32_e32 v30, 5, v30                              // 0000000043E4: 243C3C85
	v_add_u32_e32 v29, v30, v29                                // 0000000043E8: 683A3B1E
	v_and_b32_e32 v28, 15, v0                                  // 0000000043EC: 2638008F
	v_lshlrev_b32_e32 v28, 2, v28                              // 0000000043F0: 24383882
	v_add_u32_e32 v1, v28, v29                                 // 0000000043F4: 68023B1C
	s_and_b32 s60, 1, s46                                      // 0000000043F8: 863C2E81
	s_mul_i32 s60, s60, s71                                    // 0000000043FC: 923C473C
	s_mul_i32 s60, s60, 8                                      // 000000004400: 923C883C
	s_lshr_b32 s61, s46, 1                                     // 000000004404: 8F3D812E
	s_mul_i32 s61, s61, 0x80                                   // 000000004408: 923DFF3D 00000080
	s_add_u32 s60, s60, s61                                    // 000000004410: 803C3D3C
	v_add_u32_e32 v1, s60, v1                                  // 000000004414: 6802023C
	v_add_u32_e32 v2, s71, v1                                  // 000000004418: 68040247
	s_mul_i32 s60, 4, s71                                      // 00000000441C: 923C4784
	v_add_u32_e32 v3, s60, v1                                  // 000000004420: 6806023C
	v_add_u32_e32 v4, s60, v2                                  // 000000004424: 6808043C
	s_mov_b32 s71, s7                                          // 000000004428: BEC70007
	v_lshrrev_b32_e32 v28, 4, v0                               // 00000000442C: 20380084
	v_and_b32_e32 v29, 1, v28                                  // 000000004430: 263A3881
	v_lshlrev_b32_e32 v29, 1, v29                              // 000000004434: 243A3A81
	v_mul_i32_i24_e32 v29, s71, v29                            // 000000004438: 0C3A3A47
	v_and_b32_e32 v30, 2, v28                                  // 00000000443C: 263C3882
	v_lshlrev_b32_e32 v30, 5, v30                              // 000000004440: 243C3C85
	v_add_u32_e32 v29, v30, v29                                // 000000004444: 683A3B1E
	v_and_b32_e32 v28, 15, v0                                  // 000000004448: 2638008F
	v_lshlrev_b32_e32 v28, 2, v28                              // 00000000444C: 24383882
	v_add_u32_e32 v248, v28, v29                               // 000000004450: 69F03B1C
	s_and_b32 s60, 1, s46                                      // 000000004454: 863C2E81
	s_mul_i32 s60, s60, s71                                    // 000000004458: 923C473C
	s_mul_i32 s60, s60, 8                                      // 00000000445C: 923C883C
	s_lshr_b32 s61, s46, 1                                     // 000000004460: 8F3D812E
	s_mul_i32 s61, s61, 0x80                                   // 000000004464: 923DFF3D 00000080
	s_add_u32 s60, s60, s61                                    // 00000000446C: 803C3D3C
	v_add_u32_e32 v248, s60, v248                              // 000000004470: 69F1F03C
	v_add_u32_e32 v249, s71, v248                              // 000000004474: 69F3F047
	s_mul_i32 s60, 4, s71                                      // 000000004478: 923C4784
	v_add_u32_e32 v250, s60, v248                              // 00000000447C: 69F5F03C
	v_add_u32_e32 v251, s60, v249                              // 000000004480: 69F7F23C
	v_lshrrev_b32_e32 v1, 2, v1                                // 000000004484: 20020282
	v_lshrrev_b32_e32 v2, 2, v2                                // 000000004488: 20040482
	v_lshrrev_b32_e32 v3, 2, v3                                // 00000000448C: 20060682
	v_lshrrev_b32_e32 v4, 2, v4                                // 000000004490: 20080882
	v_lshrrev_b32_e32 v248, 2, v248                            // 000000004494: 21F1F082
	v_lshrrev_b32_e32 v249, 2, v249                            // 000000004498: 21F3F282
	v_lshrrev_b32_e32 v250, 2, v250                            // 00000000449C: 21F5F482
	v_lshrrev_b32_e32 v251, 2, v251                            // 0000000044A0: 21F7F682
	s_mov_b32 s70, s52                                         // 0000000044A4: BEC60034
	v_lshrrev_b32_e32 v28, 4, v0                               // 0000000044A8: 20380084
	v_mul_i32_i24_e32 v5, s70, v28                             // 0000000044AC: 0C0A3846
	v_lshrrev_b32_e32 v5, 2, v5                                // 0000000044B0: 200A0A82
	v_and_b32_e32 v28, 15, v0                                  // 0000000044B4: 2638008F
	v_lshlrev_b32_e32 v29, 2, v28                              // 0000000044B8: 243A3882
	v_add_u32_e32 v5, v29, v5                                  // 0000000044BC: 680A0B1D
	s_mul_i32 s60, 16, s70                                     // 0000000044C0: 923C4690
	s_mul_i32 s60, s46, s60                                    // 0000000044C4: 923C3C2E
	v_lshlrev_b32_e32 v5, 2, v5                                // 0000000044C8: 240A0A82
	v_add_u32_e32 v5, s60, v5                                  // 0000000044CC: 680A0A3C
	s_mul_i32 s60, s52, s59                                    // 0000000044D0: 923C3B34
	v_add_u32_e32 v5, s60, v5                                  // 0000000044D4: 680A0A3C
	v_lshrrev_b32_e32 v5, 2, v5                                // 0000000044D8: 200A0A82
	s_mov_b32 s70, s53                                         // 0000000044DC: BEC60035
	v_lshrrev_b32_e32 v28, 4, v0                               // 0000000044E0: 20380084
	v_mul_i32_i24_e32 v6, s70, v28                             // 0000000044E4: 0C0C3846
	v_lshrrev_b32_e32 v6, 2, v6                                // 0000000044E8: 200C0C82
	v_and_b32_e32 v28, 15, v0                                  // 0000000044EC: 2638008F
	v_lshlrev_b32_e32 v29, 2, v28                              // 0000000044F0: 243A3882
	v_add_u32_e32 v6, v29, v6                                  // 0000000044F4: 680C0D1D
	s_mul_i32 s60, 16, s70                                     // 0000000044F8: 923C4690
	s_mul_i32 s60, s46, s60                                    // 0000000044FC: 923C3C2E
	v_lshlrev_b32_e32 v6, 2, v6                                // 000000004500: 240C0C82
	v_add_u32_e32 v6, s60, v6                                  // 000000004504: 680C0C3C
	s_mul_i32 s60, s53, s59                                    // 000000004508: 923C3B35
	v_add_u32_e32 v6, s60, v6                                  // 00000000450C: 680C0C3C
	v_lshrrev_b32_e32 v6, 2, v6                                // 000000004510: 200C0C82
	s_cmp_ge_i32 s59, s49                                      // 000000004514: BF03313B
	s_cselect_b32 s59, s49, s59                                // 000000004518: 853B3B31
	s_add_u32 s73, 16, s59                                     // 00000000451C: 80493B90
	s_mul_i32 s55, s5, s59                                     // 000000004520: 92373B05
	s_sub_i32 s61, s49, s59                                    // 000000004524: 81BD3B31
	s_mul_i32 s62, s5, s61                                     // 000000004528: 923E3D05
	s_lshr_b32 s62, s62, 2                                     // 00000000452C: 8F3E823E
	s_mov_b32 s10, s62                                         // 000000004530: BE8A003E
	s_add_u32 s8, s55, s80                                     // 000000004534: 80085037
	s_addc_u32 s9, 0, s81                                      // 000000004538: 82095180
	s_mul_i32 s56, s51, s59                                    // 00000000453C: 92383B33
	s_mul_i32 s62, s51, s61                                    // 000000004540: 923E3D33
	s_lshr_b32 s62, s62, 2                                     // 000000004544: 8F3E823E
	s_mov_b32 s22, s62                                         // 000000004548: BE96003E
	s_add_u32 s20, s56, s86                                    // 00000000454C: 80145638
	s_addc_u32 s21, 0, s87                                     // 000000004550: 82155780
	s_mul_i32 s65, s59, 4                                      // 000000004554: 9241843B
	v_and_b32_e32 v9, 15, v0                                   // 000000004558: 2612008F
	v_lshlrev_b32_e32 v9, 2, v9                                // 00000000455C: 24121282
	v_add_u32_e32 v9, s65, v9                                  // 000000004560: 68121241
	v_lshrrev_b32_e32 v9, 2, v9                                // 000000004564: 20121282
	v_lshrrev_b32_e32 v28, 5, v0                               // 000000004568: 20380085
	v_mul_i32_i24_e64 v29, s98, 2                              // 00000000456C: D106001D 00010462
	v_mul_i32_i24_e32 v7, v29, v28                             // 000000004574: 0C0E391D
	v_and_b32_e32 v28, 31, v0                                  // 000000004578: 2638009F
	v_add_u32_e32 v7, v28, v7                                  // 00000000457C: 680E0F1C
	s_mul_i32 s60, 4, s98                                      // 000000004580: 923C6284
	s_mul_i32 s60, s46, s60                                    // 000000004584: 923C3C2E
	v_add_u32_e32 v7, s60, v7                                  // 000000004588: 680E0E3C
	v_lshlrev_b32_e32 v7, 2, v7                                // 00000000458C: 240E0E82
	v_mul_i32_i24_e32 v29, 2, v29                              // 000000004590: 0C3A3A82
	v_add_u32_e32 v8, v29, v7                                  // 000000004594: 68100F1D
	s_mul_i32 s60, s98, s65                                    // 000000004598: 923C4162
	v_add_u32_e32 v7, s60, v7                                  // 00000000459C: 680E0E3C
	v_add_u32_e32 v8, s60, v8                                  // 0000000045A0: 6810103C
	s_mul_i32 s60, 3, s2                                       // 0000000045A4: 923C0283
	s_add_u32 s61, s50, 63                                     // 0000000045A8: 803DBF32
	s_lshr_b32 s61, s61, 6                                     // 0000000045AC: 8F3D863D
	s_sub_i32 s72, s61, s60                                    // 0000000045B0: 81C83C3D
	s_cmp_lt_i32 s72, 3                                        // 0000000045B4: BF048348
	s_cselect_b32 s72, s72, 3                                  // 0000000045B8: 85488348
	s_mul_i32 s60, 0xc0, s2                                    // 0000000045BC: 923C02FF 000000C0
	s_sub_i32 s100, s50, s60                                   // 0000000045C4: 81E43C32
	v_and_b32_e32 v28, 31, v0                                  // 0000000045C8: 2638009F
	v_lshrrev_b32_e32 v28, 1, v28                              // 0000000045CC: 20383881
	v_and_b32_e32 v29, 1, v28                                  // 0000000045D0: 263A3881
	v_lshlrev_b32_e32 v29, 4, v29                              // 0000000045D4: 243A3A84
	v_and_b32_e32 v30, 2, v28                                  // 0000000045D8: 263C3882
	v_lshlrev_b32_e32 v30, 2, v30                              // 0000000045DC: 243C3C82
	v_add_u32_e32 v29, v30, v29                                // 0000000045E0: 683A3B1E
	v_and_b32_e32 v30, 12, v28                                 // 0000000045E4: 263C388C
	v_lshrrev_b32_e32 v30, 1, v30                              // 0000000045E8: 203C3C81
	v_add_u32_e32 v29, v30, v29                                // 0000000045EC: 683A3B1E
	v_lshrrev_b32_e32 v28, 5, v0                               // 0000000045F0: 20380085
	v_mul_i32_i24_e32 v30, 0x80, v28                           // 0000000045F4: 0C3C38FF 00000080
	v_add_u32_e32 v29, v30, v29                                // 0000000045FC: 683A3B1E
	v_and_b32_e32 v30, 1, v0                                   // 000000004600: 263C0081
	v_add_u32_e32 v11, v30, v29                                // 000000004604: 68163B1E
	s_and_b32 s60, 1, s46                                      // 000000004608: 863C2E81
	s_mul_i32 s60, s60, 64                                     // 00000000460C: 923CC03C
	s_lshr_b32 s61, s46, 1                                     // 000000004610: 8F3D812E
	s_mul_i32 s61, s61, 0x220                                  // 000000004614: 923DFF3D 00000220
	s_add_u32 s60, s60, s61                                    // 00000000461C: 803C3D3C
	v_add_u32_e32 v11, s60, v11                                // 000000004620: 6816163C
	v_lshlrev_b32_e32 v11, 2, v11                              // 000000004624: 24161682
	v_lshrrev_b32_e32 v28, 4, v0                               // 000000004628: 20380084
	v_and_b32_e32 v29, 1, v28                                  // 00000000462C: 263A3881
	v_lshlrev_b32_e32 v29, 4, v29                              // 000000004630: 243A3A84
	v_and_b32_e32 v30, 2, v28                                  // 000000004634: 263C3882
	v_mul_i32_i24_e32 v30, 4, v30                              // 000000004638: 0C3C3C84
	v_add_u32_e32 v29, v30, v29                                // 00000000463C: 683A3B1E
	v_and_b32_e32 v28, 15, v0                                  // 000000004640: 2638008F
	v_lshrrev_b32_e32 v30, 2, v28                              // 000000004644: 203C3882
	v_lshlrev_b32_e32 v30, 5, v30                              // 000000004648: 243C3C85
	v_add_u32_e32 v29, v30, v29                                // 00000000464C: 683A3B1E
	v_and_b32_e32 v28, 3, v0                                   // 000000004650: 26380083
	v_and_b32_e32 v30, 1, v28                                  // 000000004654: 263C3881
	v_mul_i32_i24_e32 v30, 0x108, v30                          // 000000004658: 0C3C3CFF 00000108
	v_add_u32_e32 v29, v30, v29                                // 000000004660: 683A3B1E
	v_and_b32_e32 v30, 2, v28                                  // 000000004664: 263C3882
	v_lshlrev_b32_e32 v30, 1, v30                              // 000000004668: 243C3C81
	v_add_u32_e32 v10, v30, v29                                // 00000000466C: 68143B1E
	v_lshlrev_b32_e32 v10, 2, v10                              // 000000004670: 24141482
	s_mul_i32 s60, s46, 0x1100                                 // 000000004674: 923CFF2E 00001100
	v_add_u32_e32 v22, s60, v10                                // 00000000467C: 682C143C
	v_lshrrev_b32_e32 v28, 5, v0                               // 000000004680: 20380085
	v_mul_i32_i24_e32 v13, 0x80, v28                           // 000000004684: 0C1A38FF 00000080
	v_and_b32_e32 v28, 31, v0                                  // 00000000468C: 2638009F
	v_and_b32_e32 v29, 7, v28                                  // 000000004690: 263A3887
	v_and_b32_e32 v30, 1, v29                                  // 000000004694: 263C3A81
	v_lshlrev_b32_e32 v30, 2, v30                              // 000000004698: 243C3C82
	v_add_u32_e32 v13, v30, v13                                // 00000000469C: 681A1B1E
	v_and_b32_e32 v30, 2, v29                                  // 0000000046A0: 263C3A82
	v_lshlrev_b32_e32 v30, 3, v30                              // 0000000046A4: 243C3C83
	v_add_u32_e32 v13, v30, v13                                // 0000000046A8: 681A1B1E
	v_and_b32_e32 v30, 4, v29                                  // 0000000046AC: 263C3A84
	v_lshlrev_b32_e32 v30, 1, v30                              // 0000000046B0: 243C3C81
	v_add_u32_e32 v13, v30, v13                                // 0000000046B4: 681A1B1E
	v_lshrrev_b32_e32 v29, 3, v28                              // 0000000046B8: 203A3883
	v_and_b32_e32 v30, 1, v29                                  // 0000000046BC: 263C3A81
	v_lshlrev_b32_e32 v30, 1, v30                              // 0000000046C0: 243C3C81
	v_add_u32_e32 v13, v30, v13                                // 0000000046C4: 681A1B1E
	v_and_b32_e32 v30, 2, v29                                  // 0000000046C8: 263C3A82
	v_lshrrev_b32_e32 v30, 1, v30                              // 0000000046CC: 203C3C81
	v_add_u32_e32 v13, v30, v13                                // 0000000046D0: 681A1B1E
	s_and_b32 s60, 1, s46                                      // 0000000046D4: 863C2E81
	s_mul_i32 s60, s60, 64                                     // 0000000046D8: 923CC03C
	s_lshr_b32 s61, s46, 1                                     // 0000000046DC: 8F3D812E
	s_mul_i32 s61, s61, 0x220                                  // 0000000046E0: 923DFF3D 00000220
	s_add_u32 s60, s60, s61                                    // 0000000046E8: 803C3D3C
	v_add_u32_e32 v13, s60, v13                                // 0000000046EC: 681A1A3C
	v_lshlrev_b32_e32 v13, 2, v13                              // 0000000046F0: 241A1A82
	v_and_b32_e32 v28, 15, v0                                  // 0000000046F4: 2638008F
	v_and_b32_e32 v30, 1, v28                                  // 0000000046F8: 263C3881
	v_mul_i32_i24_e32 v12, 0x108, v30                          // 0000000046FC: 0C183CFF 00000108
	v_and_b32_e32 v30, 2, v28                                  // 000000004704: 263C3882
	v_lshlrev_b32_e32 v30, 1, v30                              // 000000004708: 243C3C81
	v_add_u32_e32 v12, v30, v12                                // 00000000470C: 6818191E
	v_and_b32_e32 v30, 4, v28                                  // 000000004710: 263C3884
	v_lshlrev_b32_e32 v30, 2, v30                              // 000000004714: 243C3C82
	v_add_u32_e32 v12, v30, v12                                // 000000004718: 6818191E
	v_and_b32_e32 v30, 8, v28                                  // 00000000471C: 263C3888
	v_add_u32_e32 v12, v30, v12                                // 000000004720: 6818191E
	v_lshrrev_b32_e32 v28, 4, v0                               // 000000004724: 20380084
	v_and_b32_e32 v30, 1, v28                                  // 000000004728: 263C3881
	v_lshlrev_b32_e32 v30, 5, v30                              // 00000000472C: 243C3C85
	v_add_u32_e32 v12, v30, v12                                // 000000004730: 6818191E
	v_and_b32_e32 v29, 2, v28                                  // 000000004734: 263A3882
	v_mul_i32_i24_e32 v30, 32, v29                             // 000000004738: 0C3C3AA0
	v_mul_i32_i24_e32 v29, 0x220, v29                          // 00000000473C: 0C3A3AFF 00000220
	v_add_u32_e32 v23, v29, v12                                // 000000004744: 682E191D
	v_add_u32_e32 v12, v30, v12                                // 000000004748: 6818191E
	v_lshlrev_b32_e32 v12, 2, v12                              // 00000000474C: 24181882
	v_lshlrev_b32_e32 v23, 2, v23                              // 000000004750: 242E2E82
	s_and_b32 s60, 1, s46                                      // 000000004754: 863C2E81
	s_mul_i32 s60, s60, 0x200                                  // 000000004758: 923CFF3C 00000200
	s_lshr_b32 s61, s46, 1                                     // 000000004760: 8F3D812E
	s_mul_i32 s61, s61, 0x880                                  // 000000004764: 923DFF3D 00000880
	s_add_u32 s60, s60, s61                                    // 00000000476C: 803C3D3C
	v_add_u32_e32 v23, s60, v23                                // 000000004770: 682E2E3C
	v_lshrrev_b32_e32 v28, 4, v0                               // 000000004774: 20380084
	v_mul_i32_i24_e32 v21, 4, v28                              // 000000004778: 0C2A3884
	v_and_b32_e32 v29, 3, v0                                   // 00000000477C: 263A0083
	v_add_u32_e32 v21, v29, v21                                // 000000004780: 682A2B1D
	v_lshlrev_b32_e32 v21, 2, v21                              // 000000004784: 242A2A82
	v_lshrrev_b32_e32 v28, 4, v0                               // 000000004788: 20380084
	v_and_b32_e32 v29, 1, v28                                  // 00000000478C: 263A3881
	v_mul_i32_i24_e32 v19, 0x100, v29                          // 000000004790: 0C263AFF 00000100
	v_and_b32_e32 v29, 2, v28                                  // 000000004798: 263A3882
	v_mul_i32_i24_e32 v29, 64, v29                             // 00000000479C: 0C3A3AC0
	v_add_u32_e32 v19, v29, v19                                // 0000000047A0: 6826271D
	v_and_b32_e32 v28, 15, v0                                  // 0000000047A4: 2638008F
	v_mul_i32_i24_e32 v29, 2, v28                              // 0000000047A8: 0C3A3882
	v_add_u32_e32 v19, v29, v19                                // 0000000047AC: 6826271D
	s_mul_i32 s60, s46, 32                                     // 0000000047B0: 923CA02E
	v_add_u32_e32 v19, s60, v19                                // 0000000047B4: 6826263C
	v_lshlrev_b32_e32 v19, 2, v19                              // 0000000047B8: 24262682
	v_lshlrev_b32_e32 v20, 1, v0                               // 0000000047BC: 24280081
	s_mul_i32 s60, s46, 0x200                                  // 0000000047C0: 923CFF2E 00000200
	v_add_u32_e32 v20, s60, v20                                // 0000000047C8: 6828283C
	v_lshlrev_b32_e32 v20, 2, v20                              // 0000000047CC: 24282882
	v_lshrrev_b32_e32 v28, 5, v0                               // 0000000047D0: 20380085
	v_mul_i32_i24_e32 v17, 64, v28                             // 0000000047D4: 0C2238C0
	v_and_b32_e32 v28, 31, v0                                  // 0000000047D8: 2638009F
	v_and_b32_e32 v28, 3, v28                                  // 0000000047DC: 26383883
	v_and_b32_e32 v29, 1, v28                                  // 0000000047E0: 263A3881
	v_mul_i32_i24_e32 v29, 4, v29                              // 0000000047E4: 0C3A3A84
	v_add_u32_e32 v17, v29, v17                                // 0000000047E8: 6822231D
	v_and_b32_e32 v29, 2, v28                                  // 0000000047EC: 263A3882
	v_mul_i32_i24_e32 v29, 0x44, v29                           // 0000000047F0: 0C3A3AFF 00000044
	v_add_u32_e32 v17, v29, v17                                // 0000000047F8: 6822231D
	v_and_b32_e32 v28, 31, v0                                  // 0000000047FC: 2638009F
	v_lshrrev_b32_e32 v28, 2, v28                              // 000000004800: 20383882
	v_lshrrev_b32_e32 v30, 2, v28                              // 000000004804: 203C3882
	v_mul_i32_i24_e32 v29, 16, v30                             // 000000004808: 0C3A3C90
	v_add_u32_e32 v17, v29, v17                                // 00000000480C: 6822231D
	v_and_b32_e32 v29, 2, v28                                  // 000000004810: 263A3882
	v_lshlrev_b32_e32 v29, 4, v29                              // 000000004814: 243A3A84
	v_add_u32_e32 v17, v29, v17                                // 000000004818: 6822231D
	v_and_b32_e32 v29, 1, v28                                  // 00000000481C: 263A3881
	v_xor_b32_e32 v29, v30, v29                                // 000000004820: 2A3A3B1E
	v_mul_i32_i24_e32 v29, 8, v29                              // 000000004824: 0C3A3A88
	v_add_u32_e32 v17, v29, v17                                // 000000004828: 6822231D
	v_lshlrev_b32_e32 v17, 2, v17                              // 00000000482C: 24222282
	v_lshrrev_b32_e32 v28, 5, v0                               // 000000004830: 20380085
	v_mul_i32_i24_e32 v18, 32, v28                             // 000000004834: 0C2438A0
	v_and_b32_e32 v28, 31, v0                                  // 000000004838: 2638009F
	v_and_b32_e32 v28, 3, v28                                  // 00000000483C: 26383883
	v_and_b32_e32 v29, 1, v28                                  // 000000004840: 263A3881
	v_mul_i32_i24_e32 v29, 4, v29                              // 000000004844: 0C3A3A84
	v_add_u32_e32 v18, v29, v18                                // 000000004848: 6824251D
	v_and_b32_e32 v29, 2, v28                                  // 00000000484C: 263A3882
	v_lshrrev_b32_e32 v29, 1, v29                              // 000000004850: 203A3A81
	v_add_u32_e32 v18, v29, v18                                // 000000004854: 6824251D
	v_and_b32_e32 v28, 31, v0                                  // 000000004858: 2638009F
	v_lshrrev_b32_e32 v28, 2, v28                              // 00000000485C: 20383882
	v_and_b32_e32 v30, 1, v28                                  // 000000004860: 263C3881
	v_mul_i32_i24_e32 v29, 16, v30                             // 000000004864: 0C3A3C90
	v_add_u32_e32 v18, v29, v18                                // 000000004868: 6824251D
	v_and_b32_e32 v29, 2, v28                                  // 00000000486C: 263A3882
	v_add_u32_e32 v18, v29, v18                                // 000000004870: 6824251D
	v_lshrrev_b32_e32 v29, 2, v28                              // 000000004874: 203A3882
	v_xor_b32_e32 v29, v30, v29                                // 000000004878: 2A3A3B1E
	v_mul_i32_i24_e32 v29, 8, v29                              // 00000000487C: 0C3A3A88
	v_add_u32_e32 v18, v29, v18                                // 000000004880: 6824251D
	s_and_b32 s60, 1, s46                                      // 000000004884: 863C2E81
	s_mul_i32 s60, s60, 64                                     // 000000004888: 923CC03C
	s_lshr_b32 s61, s46, 1                                     // 00000000488C: 8F3D812E
	s_mul_i32 s61, s61, 0x120                                  // 000000004890: 923DFF3D 00000120
	s_add_u32 s60, s60, s61                                    // 000000004898: 803C3D3C
	v_add_u32_e32 v18, s60, v18                                // 00000000489C: 6824243C
	v_lshlrev_b32_e32 v18, 2, v18                              // 0000000048A0: 24242482
	v_mov_b32_e32 v152, 0                                      // 0000000048A4: 7F300280
	s_mov_b64 exec, s[88:89]                                   // 0000000048A8: BEFE0158
	buffer_load_dword v152, v1, s[12:15], 0 idxen              // 0000000048AC: E0502000 80039801
	s_mov_b32 exec_lo, -1                                      // 0000000048B4: BEFE00C1
	s_mov_b32 exec_hi, -1                                      // 0000000048B8: BEFF00C1
	v_mov_b32_e32 v153, 0                                      // 0000000048BC: 7F320280
	s_mov_b64 exec, s[88:89]                                   // 0000000048C0: BEFE0158
	buffer_load_dword v153, v2, s[12:15], 0 idxen              // 0000000048C4: E0502000 80039902
	s_mov_b32 exec_lo, -1                                      // 0000000048CC: BEFE00C1
	s_mov_b32 exec_hi, -1                                      // 0000000048D0: BEFF00C1
	v_mov_b32_e32 v154, 0                                      // 0000000048D4: 7F340280
	s_mov_b64 exec, s[88:89]                                   // 0000000048D8: BEFE0158
	buffer_load_dword v154, v3, s[12:15], 0 idxen              // 0000000048DC: E0502000 80039A03
	s_mov_b32 exec_lo, -1                                      // 0000000048E4: BEFE00C1
	s_mov_b32 exec_hi, -1                                      // 0000000048E8: BEFF00C1
	v_mov_b32_e32 v155, 0                                      // 0000000048EC: 7F360280
	s_mov_b64 exec, s[88:89]                                   // 0000000048F0: BEFE0158
	buffer_load_dword v155, v4, s[12:15], 0 idxen              // 0000000048F4: E0502000 80039B04
	s_mov_b32 exec_lo, -1                                      // 0000000048FC: BEFE00C1
	s_mov_b32 exec_hi, -1                                      // 000000004900: BEFF00C1
	s_mul_i32 s60, 4, s6                                       // 000000004904: 923C0684
	s_cmp_lt_i32 0, s72                                        // 000000004908: BF044880
	s_cselect_b32 s60, s60, 0                                  // 00000000490C: 853C803C
	v_add_u32_e32 v1, s60, v1                                  // 000000004910: 6802023C
	v_add_u32_e32 v2, s60, v2                                  // 000000004914: 6804043C
	v_add_u32_e32 v3, s60, v3                                  // 000000004918: 6806063C
	v_add_u32_e32 v4, s60, v4                                  // 00000000491C: 6808083C
	v_mov_b32_e32 v156, 0                                      // 000000004920: 7F380280
	s_mov_b64 exec, s[88:89]                                   // 000000004924: BEFE0158
	buffer_load_dword v156, v1, s[12:15], 0 idxen              // 000000004928: E0502000 80039C01
	s_mov_b32 exec_lo, -1                                      // 000000004930: BEFE00C1
	s_mov_b32 exec_hi, -1                                      // 000000004934: BEFF00C1
	v_mov_b32_e32 v157, 0                                      // 000000004938: 7F3A0280
	s_mov_b64 exec, s[88:89]                                   // 00000000493C: BEFE0158
	buffer_load_dword v157, v2, s[12:15], 0 idxen              // 000000004940: E0502000 80039D02
	s_mov_b32 exec_lo, -1                                      // 000000004948: BEFE00C1
	s_mov_b32 exec_hi, -1                                      // 00000000494C: BEFF00C1
	v_mov_b32_e32 v158, 0                                      // 000000004950: 7F3C0280
	s_mov_b64 exec, s[88:89]                                   // 000000004954: BEFE0158
	buffer_load_dword v158, v3, s[12:15], 0 idxen              // 000000004958: E0502000 80039E03
	s_mov_b32 exec_lo, -1                                      // 000000004960: BEFE00C1
	s_mov_b32 exec_hi, -1                                      // 000000004964: BEFF00C1
	v_mov_b32_e32 v159, 0                                      // 000000004968: 7F3E0280
	s_mov_b64 exec, s[88:89]                                   // 00000000496C: BEFE0158
	buffer_load_dword v159, v4, s[12:15], 0 idxen              // 000000004970: E0502000 80039F04
	s_mov_b32 exec_lo, -1                                      // 000000004978: BEFE00C1
	s_mov_b32 exec_hi, -1                                      // 00000000497C: BEFF00C1
	s_mul_i32 s60, 4, s6                                       // 000000004980: 923C0684
	s_cmp_lt_i32 0, s72                                        // 000000004984: BF044880
	s_cselect_b32 s60, s60, 0                                  // 000000004988: 853C803C
	v_add_u32_e32 v1, s60, v1                                  // 00000000498C: 6802023C
	v_add_u32_e32 v2, s60, v2                                  // 000000004990: 6804043C
	v_add_u32_e32 v3, s60, v3                                  // 000000004994: 6806063C
	v_add_u32_e32 v4, s60, v4                                  // 000000004998: 6808083C
	v_mov_b32_e32 v160, 0                                      // 00000000499C: 7F400280
	s_mov_b64 exec, s[88:89]                                   // 0000000049A0: BEFE0158
	buffer_load_dword v160, v1, s[12:15], 0 idxen              // 0000000049A4: E0502000 8003A001
	s_mov_b32 exec_lo, -1                                      // 0000000049AC: BEFE00C1
	s_mov_b32 exec_hi, -1                                      // 0000000049B0: BEFF00C1
	v_mov_b32_e32 v161, 0                                      // 0000000049B4: 7F420280
	s_mov_b64 exec, s[88:89]                                   // 0000000049B8: BEFE0158
	buffer_load_dword v161, v2, s[12:15], 0 idxen              // 0000000049BC: E0502000 8003A102
	s_mov_b32 exec_lo, -1                                      // 0000000049C4: BEFE00C1
	s_mov_b32 exec_hi, -1                                      // 0000000049C8: BEFF00C1
	v_mov_b32_e32 v162, 0                                      // 0000000049CC: 7F440280
	s_mov_b64 exec, s[88:89]                                   // 0000000049D0: BEFE0158
	buffer_load_dword v162, v3, s[12:15], 0 idxen              // 0000000049D4: E0502000 8003A203
	s_mov_b32 exec_lo, -1                                      // 0000000049DC: BEFE00C1
	s_mov_b32 exec_hi, -1                                      // 0000000049E0: BEFF00C1
	v_mov_b32_e32 v163, 0                                      // 0000000049E4: 7F460280
	s_mov_b64 exec, s[88:89]                                   // 0000000049E8: BEFE0158
	buffer_load_dword v163, v4, s[12:15], 0 idxen              // 0000000049EC: E0502000 8003A304
	s_mov_b32 exec_lo, -1                                      // 0000000049F4: BEFE00C1
	s_mov_b32 exec_hi, -1                                      // 0000000049F8: BEFF00C1
	s_mul_i32 s60, 4, s6                                       // 0000000049FC: 923C0684
	s_cmp_lt_i32 0, s72                                        // 000000004A00: BF044880
	s_cselect_b32 s60, s60, 0                                  // 000000004A04: 853C803C
	v_add_u32_e32 v1, s60, v1                                  // 000000004A08: 6802023C
	v_add_u32_e32 v2, s60, v2                                  // 000000004A0C: 6804043C
	v_add_u32_e32 v3, s60, v3                                  // 000000004A10: 6806063C
	v_add_u32_e32 v4, s60, v4                                  // 000000004A14: 6808083C
	v_mov_b32_e32 v164, 0                                      // 000000004A18: 7F480280
	s_mov_b64 exec, s[88:89]                                   // 000000004A1C: BEFE0158
	buffer_load_dword v164, v1, s[12:15], 0 idxen              // 000000004A20: E0502000 8003A401
	s_mov_b32 exec_lo, -1                                      // 000000004A28: BEFE00C1
	s_mov_b32 exec_hi, -1                                      // 000000004A2C: BEFF00C1
	v_mov_b32_e32 v165, 0                                      // 000000004A30: 7F4A0280
	s_mov_b64 exec, s[88:89]                                   // 000000004A34: BEFE0158
	buffer_load_dword v165, v2, s[12:15], 0 idxen              // 000000004A38: E0502000 8003A502
	s_mov_b32 exec_lo, -1                                      // 000000004A40: BEFE00C1
	s_mov_b32 exec_hi, -1                                      // 000000004A44: BEFF00C1
	v_mov_b32_e32 v166, 0                                      // 000000004A48: 7F4C0280
	s_mov_b64 exec, s[88:89]                                   // 000000004A4C: BEFE0158
	buffer_load_dword v166, v3, s[12:15], 0 idxen              // 000000004A50: E0502000 8003A603
	s_mov_b32 exec_lo, -1                                      // 000000004A58: BEFE00C1
	s_mov_b32 exec_hi, -1                                      // 000000004A5C: BEFF00C1
	v_mov_b32_e32 v167, 0                                      // 000000004A60: 7F4E0280
	s_mov_b64 exec, s[88:89]                                   // 000000004A64: BEFE0158
	buffer_load_dword v167, v4, s[12:15], 0 idxen              // 000000004A68: E0502000 8003A704
	s_mov_b32 exec_lo, -1                                      // 000000004A70: BEFE00C1
	s_mov_b32 exec_hi, -1                                      // 000000004A74: BEFF00C1
	s_mul_i32 s60, 4, s6                                       // 000000004A78: 923C0684
	s_cmp_lt_i32 1, s72                                        // 000000004A7C: BF044881
	s_cselect_b32 s60, s60, 0                                  // 000000004A80: 853C803C
	v_add_u32_e32 v1, s60, v1                                  // 000000004A84: 6802023C
	v_add_u32_e32 v2, s60, v2                                  // 000000004A88: 6804043C
	v_add_u32_e32 v3, s60, v3                                  // 000000004A8C: 6806063C
	v_add_u32_e32 v4, s60, v4                                  // 000000004A90: 6808083C
	v_mov_b32_e32 v168, 0                                      // 000000004A94: 7F500280
	s_mov_b64 exec, s[88:89]                                   // 000000004A98: BEFE0158
	buffer_load_dword v168, v1, s[12:15], 0 idxen              // 000000004A9C: E0502000 8003A801
	s_mov_b32 exec_lo, -1                                      // 000000004AA4: BEFE00C1
	s_mov_b32 exec_hi, -1                                      // 000000004AA8: BEFF00C1
	v_mov_b32_e32 v169, 0                                      // 000000004AAC: 7F520280
	s_mov_b64 exec, s[88:89]                                   // 000000004AB0: BEFE0158
	buffer_load_dword v169, v2, s[12:15], 0 idxen              // 000000004AB4: E0502000 8003A902
	s_mov_b32 exec_lo, -1                                      // 000000004ABC: BEFE00C1
	s_mov_b32 exec_hi, -1                                      // 000000004AC0: BEFF00C1
	v_mov_b32_e32 v170, 0                                      // 000000004AC4: 7F540280
	s_mov_b64 exec, s[88:89]                                   // 000000004AC8: BEFE0158
	buffer_load_dword v170, v3, s[12:15], 0 idxen              // 000000004ACC: E0502000 8003AA03
	s_mov_b32 exec_lo, -1                                      // 000000004AD4: BEFE00C1
	s_mov_b32 exec_hi, -1                                      // 000000004AD8: BEFF00C1
	v_mov_b32_e32 v171, 0                                      // 000000004ADC: 7F560280
	s_mov_b64 exec, s[88:89]                                   // 000000004AE0: BEFE0158
	buffer_load_dword v171, v4, s[12:15], 0 idxen              // 000000004AE4: E0502000 8003AB04
	s_mov_b32 exec_lo, -1                                      // 000000004AEC: BEFE00C1
	s_mov_b32 exec_hi, -1                                      // 000000004AF0: BEFF00C1
	s_mul_i32 s60, 4, s6                                       // 000000004AF4: 923C0684
	s_cmp_lt_i32 1, s72                                        // 000000004AF8: BF044881
	s_cselect_b32 s60, s60, 0                                  // 000000004AFC: 853C803C
	v_add_u32_e32 v1, s60, v1                                  // 000000004B00: 6802023C
	v_add_u32_e32 v2, s60, v2                                  // 000000004B04: 6804043C
	v_add_u32_e32 v3, s60, v3                                  // 000000004B08: 6806063C
	v_add_u32_e32 v4, s60, v4                                  // 000000004B0C: 6808083C
	v_mov_b32_e32 v172, 0                                      // 000000004B10: 7F580280
	s_mov_b64 exec, s[88:89]                                   // 000000004B14: BEFE0158
	buffer_load_dword v172, v1, s[12:15], 0 idxen              // 000000004B18: E0502000 8003AC01
	s_mov_b32 exec_lo, -1                                      // 000000004B20: BEFE00C1
	s_mov_b32 exec_hi, -1                                      // 000000004B24: BEFF00C1
	v_mov_b32_e32 v173, 0                                      // 000000004B28: 7F5A0280
	s_mov_b64 exec, s[88:89]                                   // 000000004B2C: BEFE0158
	buffer_load_dword v173, v2, s[12:15], 0 idxen              // 000000004B30: E0502000 8003AD02
	s_mov_b32 exec_lo, -1                                      // 000000004B38: BEFE00C1
	s_mov_b32 exec_hi, -1                                      // 000000004B3C: BEFF00C1
	v_mov_b32_e32 v174, 0                                      // 000000004B40: 7F5C0280
	s_mov_b64 exec, s[88:89]                                   // 000000004B44: BEFE0158
	buffer_load_dword v174, v3, s[12:15], 0 idxen              // 000000004B48: E0502000 8003AE03
	s_mov_b32 exec_lo, -1                                      // 000000004B50: BEFE00C1
	s_mov_b32 exec_hi, -1                                      // 000000004B54: BEFF00C1
	v_mov_b32_e32 v175, 0                                      // 000000004B58: 7F5E0280
	s_mov_b64 exec, s[88:89]                                   // 000000004B5C: BEFE0158
	buffer_load_dword v175, v4, s[12:15], 0 idxen              // 000000004B60: E0502000 8003AF04
	s_mov_b32 exec_lo, -1                                      // 000000004B68: BEFE00C1
	s_mov_b32 exec_hi, -1                                      // 000000004B6C: BEFF00C1
	s_mul_i32 s60, 4, s6                                       // 000000004B70: 923C0684
	s_cmp_lt_i32 1, s72                                        // 000000004B74: BF044881
	s_cselect_b32 s60, s60, 0                                  // 000000004B78: 853C803C
	v_add_u32_e32 v1, s60, v1                                  // 000000004B7C: 6802023C
	v_add_u32_e32 v2, s60, v2                                  // 000000004B80: 6804043C
	v_add_u32_e32 v3, s60, v3                                  // 000000004B84: 6806063C
	v_add_u32_e32 v4, s60, v4                                  // 000000004B88: 6808083C
	v_mov_b32_e32 v176, 0                                      // 000000004B8C: 7F600280
	s_mov_b64 exec, s[88:89]                                   // 000000004B90: BEFE0158
	buffer_load_dword v176, v1, s[12:15], 0 idxen              // 000000004B94: E0502000 8003B001
	s_mov_b32 exec_lo, -1                                      // 000000004B9C: BEFE00C1
	s_mov_b32 exec_hi, -1                                      // 000000004BA0: BEFF00C1
	v_mov_b32_e32 v177, 0                                      // 000000004BA4: 7F620280
	s_mov_b64 exec, s[88:89]                                   // 000000004BA8: BEFE0158
	buffer_load_dword v177, v2, s[12:15], 0 idxen              // 000000004BAC: E0502000 8003B102
	s_mov_b32 exec_lo, -1                                      // 000000004BB4: BEFE00C1
	s_mov_b32 exec_hi, -1                                      // 000000004BB8: BEFF00C1
	v_mov_b32_e32 v178, 0                                      // 000000004BBC: 7F640280
	s_mov_b64 exec, s[88:89]                                   // 000000004BC0: BEFE0158
	buffer_load_dword v178, v3, s[12:15], 0 idxen              // 000000004BC4: E0502000 8003B203
	s_mov_b32 exec_lo, -1                                      // 000000004BCC: BEFE00C1
	s_mov_b32 exec_hi, -1                                      // 000000004BD0: BEFF00C1
	v_mov_b32_e32 v179, 0                                      // 000000004BD4: 7F660280
	s_mov_b64 exec, s[88:89]                                   // 000000004BD8: BEFE0158
	buffer_load_dword v179, v4, s[12:15], 0 idxen              // 000000004BDC: E0502000 8003B304
	s_mov_b32 exec_lo, -1                                      // 000000004BE4: BEFE00C1
	s_mov_b32 exec_hi, -1                                      // 000000004BE8: BEFF00C1
	s_mul_i32 s60, 4, s6                                       // 000000004BEC: 923C0684
	s_cmp_lt_i32 1, s72                                        // 000000004BF0: BF044881
	s_cselect_b32 s60, s60, 0                                  // 000000004BF4: 853C803C
	v_add_u32_e32 v1, s60, v1                                  // 000000004BF8: 6802023C
	v_add_u32_e32 v2, s60, v2                                  // 000000004BFC: 6804043C
	v_add_u32_e32 v3, s60, v3                                  // 000000004C00: 6806063C
	v_add_u32_e32 v4, s60, v4                                  // 000000004C04: 6808083C
	v_mov_b32_e32 v180, 0                                      // 000000004C08: 7F680280
	s_mov_b64 exec, s[88:89]                                   // 000000004C0C: BEFE0158
	buffer_load_dword v180, v1, s[12:15], 0 idxen              // 000000004C10: E0502000 8003B401
	s_mov_b32 exec_lo, -1                                      // 000000004C18: BEFE00C1
	s_mov_b32 exec_hi, -1                                      // 000000004C1C: BEFF00C1
	v_mov_b32_e32 v181, 0                                      // 000000004C20: 7F6A0280
	s_mov_b64 exec, s[88:89]                                   // 000000004C24: BEFE0158
	buffer_load_dword v181, v2, s[12:15], 0 idxen              // 000000004C28: E0502000 8003B502
	s_mov_b32 exec_lo, -1                                      // 000000004C30: BEFE00C1
	s_mov_b32 exec_hi, -1                                      // 000000004C34: BEFF00C1
	v_mov_b32_e32 v182, 0                                      // 000000004C38: 7F6C0280
	s_mov_b64 exec, s[88:89]                                   // 000000004C3C: BEFE0158
	buffer_load_dword v182, v3, s[12:15], 0 idxen              // 000000004C40: E0502000 8003B603
	s_mov_b32 exec_lo, -1                                      // 000000004C48: BEFE00C1
	s_mov_b32 exec_hi, -1                                      // 000000004C4C: BEFF00C1
	v_mov_b32_e32 v183, 0                                      // 000000004C50: 7F6E0280
	s_mov_b64 exec, s[88:89]                                   // 000000004C54: BEFE0158
	buffer_load_dword v183, v4, s[12:15], 0 idxen              // 000000004C58: E0502000 8003B704
	s_mov_b32 exec_lo, -1                                      // 000000004C60: BEFE00C1
	s_mov_b32 exec_hi, -1                                      // 000000004C64: BEFF00C1
	s_mul_i32 s60, 4, s6                                       // 000000004C68: 923C0684
	s_cmp_lt_i32 2, s72                                        // 000000004C6C: BF044882
	s_cselect_b32 s60, s60, 0                                  // 000000004C70: 853C803C
	v_add_u32_e32 v1, s60, v1                                  // 000000004C74: 6802023C
	v_add_u32_e32 v2, s60, v2                                  // 000000004C78: 6804043C
	v_add_u32_e32 v3, s60, v3                                  // 000000004C7C: 6806063C
	v_add_u32_e32 v4, s60, v4                                  // 000000004C80: 6808083C
	v_mov_b32_e32 v184, 0                                      // 000000004C84: 7F700280
	s_mov_b64 exec, s[88:89]                                   // 000000004C88: BEFE0158
	buffer_load_dword v184, v1, s[12:15], 0 idxen              // 000000004C8C: E0502000 8003B801
	s_mov_b32 exec_lo, -1                                      // 000000004C94: BEFE00C1
	s_mov_b32 exec_hi, -1                                      // 000000004C98: BEFF00C1
	v_mov_b32_e32 v185, 0                                      // 000000004C9C: 7F720280
	s_mov_b64 exec, s[88:89]                                   // 000000004CA0: BEFE0158
	buffer_load_dword v185, v2, s[12:15], 0 idxen              // 000000004CA4: E0502000 8003B902
	s_mov_b32 exec_lo, -1                                      // 000000004CAC: BEFE00C1
	s_mov_b32 exec_hi, -1                                      // 000000004CB0: BEFF00C1
	v_mov_b32_e32 v186, 0                                      // 000000004CB4: 7F740280
	s_mov_b64 exec, s[88:89]                                   // 000000004CB8: BEFE0158
	buffer_load_dword v186, v3, s[12:15], 0 idxen              // 000000004CBC: E0502000 8003BA03
	s_mov_b32 exec_lo, -1                                      // 000000004CC4: BEFE00C1
	s_mov_b32 exec_hi, -1                                      // 000000004CC8: BEFF00C1
	v_mov_b32_e32 v187, 0                                      // 000000004CCC: 7F760280
	s_mov_b64 exec, s[88:89]                                   // 000000004CD0: BEFE0158
	buffer_load_dword v187, v4, s[12:15], 0 idxen              // 000000004CD4: E0502000 8003BB04
	s_mov_b32 exec_lo, -1                                      // 000000004CDC: BEFE00C1
	s_mov_b32 exec_hi, -1                                      // 000000004CE0: BEFF00C1
	s_mul_i32 s60, 4, s6                                       // 000000004CE4: 923C0684
	s_cmp_lt_i32 2, s72                                        // 000000004CE8: BF044882
	s_cselect_b32 s60, s60, 0                                  // 000000004CEC: 853C803C
	v_add_u32_e32 v1, s60, v1                                  // 000000004CF0: 6802023C
	v_add_u32_e32 v2, s60, v2                                  // 000000004CF4: 6804043C
	v_add_u32_e32 v3, s60, v3                                  // 000000004CF8: 6806063C
	v_add_u32_e32 v4, s60, v4                                  // 000000004CFC: 6808083C
	v_mov_b32_e32 v188, 0                                      // 000000004D00: 7F780280
	s_mov_b64 exec, s[88:89]                                   // 000000004D04: BEFE0158
	buffer_load_dword v188, v1, s[12:15], 0 idxen              // 000000004D08: E0502000 8003BC01
	s_mov_b32 exec_lo, -1                                      // 000000004D10: BEFE00C1
	s_mov_b32 exec_hi, -1                                      // 000000004D14: BEFF00C1
	v_mov_b32_e32 v189, 0                                      // 000000004D18: 7F7A0280
	s_mov_b64 exec, s[88:89]                                   // 000000004D1C: BEFE0158
	buffer_load_dword v189, v2, s[12:15], 0 idxen              // 000000004D20: E0502000 8003BD02
	s_mov_b32 exec_lo, -1                                      // 000000004D28: BEFE00C1
	s_mov_b32 exec_hi, -1                                      // 000000004D2C: BEFF00C1
	v_mov_b32_e32 v190, 0                                      // 000000004D30: 7F7C0280
	s_mov_b64 exec, s[88:89]                                   // 000000004D34: BEFE0158
	buffer_load_dword v190, v3, s[12:15], 0 idxen              // 000000004D38: E0502000 8003BE03
	s_mov_b32 exec_lo, -1                                      // 000000004D40: BEFE00C1
	s_mov_b32 exec_hi, -1                                      // 000000004D44: BEFF00C1
	v_mov_b32_e32 v191, 0                                      // 000000004D48: 7F7E0280
	s_mov_b64 exec, s[88:89]                                   // 000000004D4C: BEFE0158
	buffer_load_dword v191, v4, s[12:15], 0 idxen              // 000000004D50: E0502000 8003BF04
	s_mov_b32 exec_lo, -1                                      // 000000004D58: BEFE00C1
	s_mov_b32 exec_hi, -1                                      // 000000004D5C: BEFF00C1
	s_mul_i32 s60, 4, s6                                       // 000000004D60: 923C0684
	s_cmp_lt_i32 2, s72                                        // 000000004D64: BF044882
	s_cselect_b32 s60, s60, 0                                  // 000000004D68: 853C803C
	v_add_u32_e32 v1, s60, v1                                  // 000000004D6C: 6802023C
	v_add_u32_e32 v2, s60, v2                                  // 000000004D70: 6804043C
	v_add_u32_e32 v3, s60, v3                                  // 000000004D74: 6806063C
	v_add_u32_e32 v4, s60, v4                                  // 000000004D78: 6808083C
	v_mov_b32_e32 v192, 0                                      // 000000004D7C: 7F800280
	s_mov_b64 exec, s[88:89]                                   // 000000004D80: BEFE0158
	buffer_load_dword v192, v1, s[12:15], 0 idxen              // 000000004D84: E0502000 8003C001
	s_mov_b32 exec_lo, -1                                      // 000000004D8C: BEFE00C1
	s_mov_b32 exec_hi, -1                                      // 000000004D90: BEFF00C1
	v_mov_b32_e32 v193, 0                                      // 000000004D94: 7F820280
	s_mov_b64 exec, s[88:89]                                   // 000000004D98: BEFE0158
	buffer_load_dword v193, v2, s[12:15], 0 idxen              // 000000004D9C: E0502000 8003C102
	s_mov_b32 exec_lo, -1                                      // 000000004DA4: BEFE00C1
	s_mov_b32 exec_hi, -1                                      // 000000004DA8: BEFF00C1
	v_mov_b32_e32 v194, 0                                      // 000000004DAC: 7F840280
	s_mov_b64 exec, s[88:89]                                   // 000000004DB0: BEFE0158
	buffer_load_dword v194, v3, s[12:15], 0 idxen              // 000000004DB4: E0502000 8003C203
	s_mov_b32 exec_lo, -1                                      // 000000004DBC: BEFE00C1
	s_mov_b32 exec_hi, -1                                      // 000000004DC0: BEFF00C1
	v_mov_b32_e32 v195, 0                                      // 000000004DC4: 7F860280
	s_mov_b64 exec, s[88:89]                                   // 000000004DC8: BEFE0158
	buffer_load_dword v195, v4, s[12:15], 0 idxen              // 000000004DCC: E0502000 8003C304
	s_mov_b32 exec_lo, -1                                      // 000000004DD4: BEFE00C1
	s_mov_b32 exec_hi, -1                                      // 000000004DD8: BEFF00C1
	s_mul_i32 s60, 4, s6                                       // 000000004DDC: 923C0684
	s_cmp_lt_i32 2, s72                                        // 000000004DE0: BF044882
	s_cselect_b32 s60, s60, 0                                  // 000000004DE4: 853C803C
	v_add_u32_e32 v1, s60, v1                                  // 000000004DE8: 6802023C
	v_add_u32_e32 v2, s60, v2                                  // 000000004DEC: 6804043C
	v_add_u32_e32 v3, s60, v3                                  // 000000004DF0: 6806063C
	v_add_u32_e32 v4, s60, v4                                  // 000000004DF4: 6808083C
	v_mov_b32_e32 v196, 0                                      // 000000004DF8: 7F880280
	s_mov_b64 exec, s[88:89]                                   // 000000004DFC: BEFE0158
	buffer_load_dword v196, v1, s[12:15], 0 idxen              // 000000004E00: E0502000 8003C401
	s_mov_b32 exec_lo, -1                                      // 000000004E08: BEFE00C1
	s_mov_b32 exec_hi, -1                                      // 000000004E0C: BEFF00C1
	v_mov_b32_e32 v197, 0                                      // 000000004E10: 7F8A0280
	s_mov_b64 exec, s[88:89]                                   // 000000004E14: BEFE0158
	buffer_load_dword v197, v2, s[12:15], 0 idxen              // 000000004E18: E0502000 8003C502
	s_mov_b32 exec_lo, -1                                      // 000000004E20: BEFE00C1
	s_mov_b32 exec_hi, -1                                      // 000000004E24: BEFF00C1
	v_mov_b32_e32 v198, 0                                      // 000000004E28: 7F8C0280
	s_mov_b64 exec, s[88:89]                                   // 000000004E2C: BEFE0158
	buffer_load_dword v198, v3, s[12:15], 0 idxen              // 000000004E30: E0502000 8003C603
	s_mov_b32 exec_lo, -1                                      // 000000004E38: BEFE00C1
	s_mov_b32 exec_hi, -1                                      // 000000004E3C: BEFF00C1
	v_mov_b32_e32 v199, 0                                      // 000000004E40: 7F8E0280
	s_mov_b64 exec, s[88:89]                                   // 000000004E44: BEFE0158
	buffer_load_dword v199, v4, s[12:15], 0 idxen              // 000000004E48: E0502000 8003C704
	s_mov_b32 exec_lo, -1                                      // 000000004E50: BEFE00C1
	s_mov_b32 exec_hi, -1                                      // 000000004E54: BEFF00C1
	s_mul_i32 s60, 4, s6                                       // 000000004E58: 923C0684
	s_cmp_lt_i32 3, s72                                        // 000000004E5C: BF044883
	s_cselect_b32 s60, s60, 0                                  // 000000004E60: 853C803C
	v_add_u32_e32 v1, s60, v1                                  // 000000004E64: 6802023C
	v_add_u32_e32 v2, s60, v2                                  // 000000004E68: 6804043C
	v_add_u32_e32 v3, s60, v3                                  // 000000004E6C: 6806063C
	v_add_u32_e32 v4, s60, v4                                  // 000000004E70: 6808083C
	s_waitcnt vmcnt(32) lgkmcnt(0)                             // 000000004E74: BF8C8070
	s_barrier                                                  // 000000004E78: BF8A0000
	s_cmp_lt_i32 0, s72                                        // 000000004E7C: BF044880
	s_cbranch_scc1 label_0431                                  // 000000004E80: BF850010
	v_mov_b32_e32 v152, 0                                      // 000000004E84: 7F300280
	v_mov_b32_e32 v153, 0                                      // 000000004E88: 7F320280
	v_mov_b32_e32 v154, 0                                      // 000000004E8C: 7F340280
	v_mov_b32_e32 v155, 0                                      // 000000004E90: 7F360280
	v_mov_b32_e32 v156, 0                                      // 000000004E94: 7F380280
	v_mov_b32_e32 v157, 0                                      // 000000004E98: 7F3A0280
	v_mov_b32_e32 v158, 0                                      // 000000004E9C: 7F3C0280
	v_mov_b32_e32 v159, 0                                      // 000000004EA0: 7F3E0280
	v_mov_b32_e32 v160, 0                                      // 000000004EA4: 7F400280
	v_mov_b32_e32 v161, 0                                      // 000000004EA8: 7F420280
	v_mov_b32_e32 v162, 0                                      // 000000004EAC: 7F440280
	v_mov_b32_e32 v163, 0                                      // 000000004EB0: 7F460280
	v_mov_b32_e32 v164, 0                                      // 000000004EB4: 7F480280
	v_mov_b32_e32 v165, 0                                      // 000000004EB8: 7F4A0280
	v_mov_b32_e32 v166, 0                                      // 000000004EBC: 7F4C0280
	v_mov_b32_e32 v167, 0                                      // 000000004EC0: 7F4E0280

0000000000004ec4 <label_0431>:
	v_perm_b32 v200, v153, v152, s63                           // 000000004EC4: D1ED00C8 00FF3199
	v_perm_b32 v201, v153, v152, s64                           // 000000004ECC: D1ED00C9 01033199
	v_perm_b32 v202, v155, v154, s63                           // 000000004ED4: D1ED00CA 00FF359B
	v_perm_b32 v203, v155, v154, s64                           // 000000004EDC: D1ED00CB 0103359B
	v_perm_b32 v204, v157, v156, s63                           // 000000004EE4: D1ED00CC 00FF399D
	v_perm_b32 v205, v157, v156, s64                           // 000000004EEC: D1ED00CD 0103399D
	v_perm_b32 v206, v159, v158, s63                           // 000000004EF4: D1ED00CE 00FF3D9F
	v_perm_b32 v207, v159, v158, s64                           // 000000004EFC: D1ED00CF 01033D9F
	v_perm_b32 v208, v161, v160, s63                           // 000000004F04: D1ED00D0 00FF41A1
	v_perm_b32 v209, v161, v160, s64                           // 000000004F0C: D1ED00D1 010341A1
	v_perm_b32 v210, v163, v162, s63                           // 000000004F14: D1ED00D2 00FF45A3
	v_perm_b32 v211, v163, v162, s64                           // 000000004F1C: D1ED00D3 010345A3
	v_perm_b32 v212, v165, v164, s63                           // 000000004F24: D1ED00D4 00FF49A5
	v_perm_b32 v213, v165, v164, s64                           // 000000004F2C: D1ED00D5 010349A5
	v_perm_b32 v214, v167, v166, s63                           // 000000004F34: D1ED00D6 00FF4DA7
	v_perm_b32 v215, v167, v166, s64                           // 000000004F3C: D1ED00D7 01034DA7
	ds_write_b32 v13, v200 offset:17408                        // 000000004F44: D81A4400 0000C80D
	ds_write_b32 v13, v201 offset:18464                        // 000000004F4C: D81A4820 0000C90D
	ds_write_b32 v13, v202 offset:17536                        // 000000004F54: D81A4480 0000CA0D
	ds_write_b32 v13, v203 offset:18592                        // 000000004F5C: D81A48A0 0000CB0D
	ds_write_b32 v13, v204 offset:21760                        // 000000004F64: D81A5500 0000CC0D
	ds_write_b32 v13, v205 offset:22816                        // 000000004F6C: D81A5920 0000CD0D
	ds_write_b32 v13, v206 offset:21888                        // 000000004F74: D81A5580 0000CE0D
	ds_write_b32 v13, v207 offset:22944                        // 000000004F7C: D81A59A0 0000CF0D
	ds_write_b32 v13, v208 offset:26112                        // 000000004F84: D81A6600 0000D00D
	ds_write_b32 v13, v209 offset:27168                        // 000000004F8C: D81A6A20 0000D10D
	ds_write_b32 v13, v210 offset:26240                        // 000000004F94: D81A6680 0000D20D
	ds_write_b32 v13, v211 offset:27296                        // 000000004F9C: D81A6AA0 0000D30D
	ds_write_b32 v13, v212 offset:30464                        // 000000004FA4: D81A7700 0000D40D
	ds_write_b32 v13, v213 offset:31520                        // 000000004FAC: D81A7B20 0000D50D
	ds_write_b32 v13, v214 offset:30592                        // 000000004FB4: D81A7780 0000D60D
	ds_write_b32 v13, v215 offset:31648                        // 000000004FBC: D81A7BA0 0000D70D
	ds_write_b32 v11, v152                                     // 000000004FC4: D81A0000 0000980B
	ds_write_b32 v11, v153 offset:1056                         // 000000004FCC: D81A0420 0000990B
	ds_write_b32 v11, v154 offset:128                          // 000000004FD4: D81A0080 00009A0B
	ds_write_b32 v11, v155 offset:1184                         // 000000004FDC: D81A04A0 00009B0B
	ds_write_b32 v11, v156 offset:4352                         // 000000004FE4: D81A1100 00009C0B
	ds_write_b32 v11, v157 offset:5408                         // 000000004FEC: D81A1520 00009D0B
	ds_write_b32 v11, v158 offset:4480                         // 000000004FF4: D81A1180 00009E0B
	ds_write_b32 v11, v159 offset:5536                         // 000000004FFC: D81A15A0 00009F0B
	ds_write_b32 v11, v160 offset:8704                         // 000000005004: D81A2200 0000A00B
	ds_write_b32 v11, v161 offset:9760                         // 00000000500C: D81A2620 0000A10B
	ds_write_b32 v11, v162 offset:8832                         // 000000005014: D81A2280 0000A20B
	ds_write_b32 v11, v163 offset:9888                         // 00000000501C: D81A26A0 0000A30B
	ds_write_b32 v11, v164 offset:13056                        // 000000005024: D81A3300 0000A40B
	ds_write_b32 v11, v165 offset:14112                        // 00000000502C: D81A3720 0000A50B
	ds_write_b32 v11, v166 offset:13184                        // 000000005034: D81A3380 0000A60B
	ds_write_b32 v11, v167 offset:14240                        // 00000000503C: D81A37A0 0000A70B
	v_mov_b32_e32 v152, 0                                      // 000000005044: 7F300280
	s_mov_b64 exec, s[88:89]                                   // 000000005048: BEFE0158
	buffer_load_dword v152, v248, s[16:19], 0 idxen            // 00000000504C: E0502000 800498F8
	s_mov_b32 exec_lo, -1                                      // 000000005054: BEFE00C1
	s_mov_b32 exec_hi, -1                                      // 000000005058: BEFF00C1
	v_mov_b32_e32 v153, 0                                      // 00000000505C: 7F320280
	s_mov_b64 exec, s[88:89]                                   // 000000005060: BEFE0158
	buffer_load_dword v153, v249, s[16:19], 0 idxen            // 000000005064: E0502000 800499F9
	s_mov_b32 exec_lo, -1                                      // 00000000506C: BEFE00C1
	s_mov_b32 exec_hi, -1                                      // 000000005070: BEFF00C1
	v_mov_b32_e32 v154, 0                                      // 000000005074: 7F340280
	s_mov_b64 exec, s[88:89]                                   // 000000005078: BEFE0158
	buffer_load_dword v154, v250, s[16:19], 0 idxen            // 00000000507C: E0502000 80049AFA
	s_mov_b32 exec_lo, -1                                      // 000000005084: BEFE00C1
	s_mov_b32 exec_hi, -1                                      // 000000005088: BEFF00C1
	v_mov_b32_e32 v155, 0                                      // 00000000508C: 7F360280
	s_mov_b64 exec, s[88:89]                                   // 000000005090: BEFE0158
	buffer_load_dword v155, v251, s[16:19], 0 idxen            // 000000005094: E0502000 80049BFB
	s_mov_b32 exec_lo, -1                                      // 00000000509C: BEFE00C1
	s_mov_b32 exec_hi, -1                                      // 0000000050A0: BEFF00C1
	s_mul_i32 s60, 4, s7                                       // 0000000050A4: 923C0784
	s_cmp_lt_i32 0, s72                                        // 0000000050A8: BF044880
	s_cselect_b32 s60, s60, 0                                  // 0000000050AC: 853C803C
	v_add_u32_e32 v248, s60, v248                              // 0000000050B0: 69F1F03C
	v_add_u32_e32 v249, s60, v249                              // 0000000050B4: 69F3F23C
	v_add_u32_e32 v250, s60, v250                              // 0000000050B8: 69F5F43C
	v_add_u32_e32 v251, s60, v251                              // 0000000050BC: 69F7F63C
	v_mov_b32_e32 v156, 0                                      // 0000000050C0: 7F380280
	s_mov_b64 exec, s[88:89]                                   // 0000000050C4: BEFE0158
	buffer_load_dword v156, v248, s[16:19], 0 idxen            // 0000000050C8: E0502000 80049CF8
	s_mov_b32 exec_lo, -1                                      // 0000000050D0: BEFE00C1
	s_mov_b32 exec_hi, -1                                      // 0000000050D4: BEFF00C1
	v_mov_b32_e32 v157, 0                                      // 0000000050D8: 7F3A0280
	s_mov_b64 exec, s[88:89]                                   // 0000000050DC: BEFE0158
	buffer_load_dword v157, v249, s[16:19], 0 idxen            // 0000000050E0: E0502000 80049DF9
	s_mov_b32 exec_lo, -1                                      // 0000000050E8: BEFE00C1
	s_mov_b32 exec_hi, -1                                      // 0000000050EC: BEFF00C1
	v_mov_b32_e32 v158, 0                                      // 0000000050F0: 7F3C0280
	s_mov_b64 exec, s[88:89]                                   // 0000000050F4: BEFE0158
	buffer_load_dword v158, v250, s[16:19], 0 idxen            // 0000000050F8: E0502000 80049EFA
	s_mov_b32 exec_lo, -1                                      // 000000005100: BEFE00C1
	s_mov_b32 exec_hi, -1                                      // 000000005104: BEFF00C1
	v_mov_b32_e32 v159, 0                                      // 000000005108: 7F3E0280
	s_mov_b64 exec, s[88:89]                                   // 00000000510C: BEFE0158
	buffer_load_dword v159, v251, s[16:19], 0 idxen            // 000000005110: E0502000 80049FFB
	s_mov_b32 exec_lo, -1                                      // 000000005118: BEFE00C1
	s_mov_b32 exec_hi, -1                                      // 00000000511C: BEFF00C1
	s_mul_i32 s60, 4, s7                                       // 000000005120: 923C0784
	s_cmp_lt_i32 0, s72                                        // 000000005124: BF044880
	s_cselect_b32 s60, s60, 0                                  // 000000005128: 853C803C
	v_add_u32_e32 v248, s60, v248                              // 00000000512C: 69F1F03C
	v_add_u32_e32 v249, s60, v249                              // 000000005130: 69F3F23C
	v_add_u32_e32 v250, s60, v250                              // 000000005134: 69F5F43C
	v_add_u32_e32 v251, s60, v251                              // 000000005138: 69F7F63C
	v_mov_b32_e32 v160, 0                                      // 00000000513C: 7F400280
	s_mov_b64 exec, s[88:89]                                   // 000000005140: BEFE0158
	buffer_load_dword v160, v248, s[16:19], 0 idxen            // 000000005144: E0502000 8004A0F8
	s_mov_b32 exec_lo, -1                                      // 00000000514C: BEFE00C1
	s_mov_b32 exec_hi, -1                                      // 000000005150: BEFF00C1
	v_mov_b32_e32 v161, 0                                      // 000000005154: 7F420280
	s_mov_b64 exec, s[88:89]                                   // 000000005158: BEFE0158
	buffer_load_dword v161, v249, s[16:19], 0 idxen            // 00000000515C: E0502000 8004A1F9
	s_mov_b32 exec_lo, -1                                      // 000000005164: BEFE00C1
	s_mov_b32 exec_hi, -1                                      // 000000005168: BEFF00C1
	v_mov_b32_e32 v162, 0                                      // 00000000516C: 7F440280
	s_mov_b64 exec, s[88:89]                                   // 000000005170: BEFE0158
	buffer_load_dword v162, v250, s[16:19], 0 idxen            // 000000005174: E0502000 8004A2FA
	s_mov_b32 exec_lo, -1                                      // 00000000517C: BEFE00C1
	s_mov_b32 exec_hi, -1                                      // 000000005180: BEFF00C1
	v_mov_b32_e32 v163, 0                                      // 000000005184: 7F460280
	s_mov_b64 exec, s[88:89]                                   // 000000005188: BEFE0158
	buffer_load_dword v163, v251, s[16:19], 0 idxen            // 00000000518C: E0502000 8004A3FB
	s_mov_b32 exec_lo, -1                                      // 000000005194: BEFE00C1
	s_mov_b32 exec_hi, -1                                      // 000000005198: BEFF00C1
	s_mul_i32 s60, 4, s7                                       // 00000000519C: 923C0784
	s_cmp_lt_i32 0, s72                                        // 0000000051A0: BF044880
	s_cselect_b32 s60, s60, 0                                  // 0000000051A4: 853C803C
	v_add_u32_e32 v248, s60, v248                              // 0000000051A8: 69F1F03C
	v_add_u32_e32 v249, s60, v249                              // 0000000051AC: 69F3F23C
	v_add_u32_e32 v250, s60, v250                              // 0000000051B0: 69F5F43C
	v_add_u32_e32 v251, s60, v251                              // 0000000051B4: 69F7F63C
	v_mov_b32_e32 v164, 0                                      // 0000000051B8: 7F480280
	s_mov_b64 exec, s[88:89]                                   // 0000000051BC: BEFE0158
	buffer_load_dword v164, v248, s[16:19], 0 idxen            // 0000000051C0: E0502000 8004A4F8
	s_mov_b32 exec_lo, -1                                      // 0000000051C8: BEFE00C1
	s_mov_b32 exec_hi, -1                                      // 0000000051CC: BEFF00C1
	v_mov_b32_e32 v165, 0                                      // 0000000051D0: 7F4A0280
	s_mov_b64 exec, s[88:89]                                   // 0000000051D4: BEFE0158
	buffer_load_dword v165, v249, s[16:19], 0 idxen            // 0000000051D8: E0502000 8004A5F9
	s_mov_b32 exec_lo, -1                                      // 0000000051E0: BEFE00C1
	s_mov_b32 exec_hi, -1                                      // 0000000051E4: BEFF00C1
	v_mov_b32_e32 v166, 0                                      // 0000000051E8: 7F4C0280
	s_mov_b64 exec, s[88:89]                                   // 0000000051EC: BEFE0158
	buffer_load_dword v166, v250, s[16:19], 0 idxen            // 0000000051F0: E0502000 8004A6FA
	s_mov_b32 exec_lo, -1                                      // 0000000051F8: BEFE00C1
	s_mov_b32 exec_hi, -1                                      // 0000000051FC: BEFF00C1
	v_mov_b32_e32 v167, 0                                      // 000000005200: 7F4E0280
	s_mov_b64 exec, s[88:89]                                   // 000000005204: BEFE0158
	buffer_load_dword v167, v251, s[16:19], 0 idxen            // 000000005208: E0502000 8004A7FB
	s_mov_b32 exec_lo, -1                                      // 000000005210: BEFE00C1
	s_mov_b32 exec_hi, -1                                      // 000000005214: BEFF00C1
	s_mul_i32 s60, 4, s7                                       // 000000005218: 923C0784
	s_cmp_lt_i32 1, s72                                        // 00000000521C: BF044881
	s_cselect_b32 s60, s60, 0                                  // 000000005220: 853C803C
	v_add_u32_e32 v248, s60, v248                              // 000000005224: 69F1F03C
	v_add_u32_e32 v249, s60, v249                              // 000000005228: 69F3F23C
	v_add_u32_e32 v250, s60, v250                              // 00000000522C: 69F5F43C
	v_add_u32_e32 v251, s60, v251                              // 000000005230: 69F7F63C
	s_waitcnt lgkmcnt(0)                                       // 000000005234: BF8CC07F
	s_barrier                                                  // 000000005238: BF8A0000
	ds_read_b128 a[48:51], v23 offset:17408                    // 00000000523C: DBFE4400 30000017
	ds_read_b128 a[52:55], v23 offset:17664                    // 000000005244: DBFE4500 34000017
	ds_read_b128 a[56:59], v23 offset:26112                    // 00000000524C: DBFE6600 38000017
	ds_read_b128 a[60:63], v23 offset:26368                    // 000000005254: DBFE6700 3C000017
	ds_read_b128 a[0:3], v22                                   // 00000000525C: DBFE0000 00000016
	ds_read_b128 a[4:7], v22 offset:512                        // 000000005264: DBFE0200 04000016
	ds_read_b128 a[8:11], v22 offset:2176                      // 00000000526C: DBFE0880 08000016
	ds_read_b128 a[12:15], v22 offset:2688                     // 000000005274: DBFE0A80 0C000016
	s_waitcnt vmcnt(32) lgkmcnt(0)                             // 00000000527C: BF8C8070
	s_barrier                                                  // 000000005280: BF8A0000
	s_cmp_lt_i32 1, s72                                        // 000000005284: BF044881
	s_cbranch_scc1 label_0533                                  // 000000005288: BF850010
	v_mov_b32_e32 v168, 0                                      // 00000000528C: 7F500280
	v_mov_b32_e32 v169, 0                                      // 000000005290: 7F520280
	v_mov_b32_e32 v170, 0                                      // 000000005294: 7F540280
	v_mov_b32_e32 v171, 0                                      // 000000005298: 7F560280
	v_mov_b32_e32 v172, 0                                      // 00000000529C: 7F580280
	v_mov_b32_e32 v173, 0                                      // 0000000052A0: 7F5A0280
	v_mov_b32_e32 v174, 0                                      // 0000000052A4: 7F5C0280
	v_mov_b32_e32 v175, 0                                      // 0000000052A8: 7F5E0280
	v_mov_b32_e32 v176, 0                                      // 0000000052AC: 7F600280
	v_mov_b32_e32 v177, 0                                      // 0000000052B0: 7F620280
	v_mov_b32_e32 v178, 0                                      // 0000000052B4: 7F640280
	v_mov_b32_e32 v179, 0                                      // 0000000052B8: 7F660280
	v_mov_b32_e32 v180, 0                                      // 0000000052BC: 7F680280
	v_mov_b32_e32 v181, 0                                      // 0000000052C0: 7F6A0280
	v_mov_b32_e32 v182, 0                                      // 0000000052C4: 7F6C0280
	v_mov_b32_e32 v183, 0                                      // 0000000052C8: 7F6E0280

00000000000052cc <label_0533>:
	v_perm_b32 v200, v169, v168, s63                           // 0000000052CC: D1ED00C8 00FF51A9
	v_perm_b32 v201, v169, v168, s64                           // 0000000052D4: D1ED00C9 010351A9
	v_perm_b32 v202, v171, v170, s63                           // 0000000052DC: D1ED00CA 00FF55AB
	v_perm_b32 v203, v171, v170, s64                           // 0000000052E4: D1ED00CB 010355AB
	v_perm_b32 v204, v173, v172, s63                           // 0000000052EC: D1ED00CC 00FF59AD
	v_perm_b32 v205, v173, v172, s64                           // 0000000052F4: D1ED00CD 010359AD
	v_perm_b32 v206, v175, v174, s63                           // 0000000052FC: D1ED00CE 00FF5DAF
	v_perm_b32 v207, v175, v174, s64                           // 000000005304: D1ED00CF 01035DAF
	v_perm_b32 v208, v177, v176, s63                           // 00000000530C: D1ED00D0 00FF61B1
	v_perm_b32 v209, v177, v176, s64                           // 000000005314: D1ED00D1 010361B1
	v_perm_b32 v210, v179, v178, s63                           // 00000000531C: D1ED00D2 00FF65B3
	v_perm_b32 v211, v179, v178, s64                           // 000000005324: D1ED00D3 010365B3
	v_perm_b32 v212, v181, v180, s63                           // 00000000532C: D1ED00D4 00FF69B5
	v_perm_b32 v213, v181, v180, s64                           // 000000005334: D1ED00D5 010369B5
	v_perm_b32 v214, v183, v182, s63                           // 00000000533C: D1ED00D6 00FF6DB7
	v_perm_b32 v215, v183, v182, s64                           // 000000005344: D1ED00D7 01036DB7
	ds_write_b32 v13, v200 offset:17408                        // 00000000534C: D81A4400 0000C80D
	ds_write_b32 v13, v201 offset:18464                        // 000000005354: D81A4820 0000C90D
	ds_write_b32 v13, v202 offset:17536                        // 00000000535C: D81A4480 0000CA0D
	ds_write_b32 v13, v203 offset:18592                        // 000000005364: D81A48A0 0000CB0D
	ds_write_b32 v13, v204 offset:21760                        // 00000000536C: D81A5500 0000CC0D
	ds_write_b32 v13, v205 offset:22816                        // 000000005374: D81A5920 0000CD0D
	ds_write_b32 v13, v206 offset:21888                        // 00000000537C: D81A5580 0000CE0D
	ds_write_b32 v13, v207 offset:22944                        // 000000005384: D81A59A0 0000CF0D
	ds_write_b32 v13, v208 offset:26112                        // 00000000538C: D81A6600 0000D00D
	ds_write_b32 v13, v209 offset:27168                        // 000000005394: D81A6A20 0000D10D
	ds_write_b32 v13, v210 offset:26240                        // 00000000539C: D81A6680 0000D20D
	ds_write_b32 v13, v211 offset:27296                        // 0000000053A4: D81A6AA0 0000D30D
	ds_write_b32 v13, v212 offset:30464                        // 0000000053AC: D81A7700 0000D40D
	ds_write_b32 v13, v213 offset:31520                        // 0000000053B4: D81A7B20 0000D50D
	ds_write_b32 v13, v214 offset:30592                        // 0000000053BC: D81A7780 0000D60D
	ds_write_b32 v13, v215 offset:31648                        // 0000000053C4: D81A7BA0 0000D70D
	ds_write_b32 v11, v168                                     // 0000000053CC: D81A0000 0000A80B
	ds_write_b32 v11, v169 offset:1056                         // 0000000053D4: D81A0420 0000A90B
	ds_write_b32 v11, v170 offset:128                          // 0000000053DC: D81A0080 0000AA0B
	ds_write_b32 v11, v171 offset:1184                         // 0000000053E4: D81A04A0 0000AB0B
	ds_write_b32 v11, v172 offset:4352                         // 0000000053EC: D81A1100 0000AC0B
	ds_write_b32 v11, v173 offset:5408                         // 0000000053F4: D81A1520 0000AD0B
	ds_write_b32 v11, v174 offset:4480                         // 0000000053FC: D81A1180 0000AE0B
	ds_write_b32 v11, v175 offset:5536                         // 000000005404: D81A15A0 0000AF0B
	ds_write_b32 v11, v176 offset:8704                         // 00000000540C: D81A2200 0000B00B
	ds_write_b32 v11, v177 offset:9760                         // 000000005414: D81A2620 0000B10B
	ds_write_b32 v11, v178 offset:8832                         // 00000000541C: D81A2280 0000B20B
	ds_write_b32 v11, v179 offset:9888                         // 000000005424: D81A26A0 0000B30B
	ds_write_b32 v11, v180 offset:13056                        // 00000000542C: D81A3300 0000B40B
	ds_write_b32 v11, v181 offset:14112                        // 000000005434: D81A3720 0000B50B
	ds_write_b32 v11, v182 offset:13184                        // 00000000543C: D81A3380 0000B60B
	ds_write_b32 v11, v183 offset:14240                        // 000000005444: D81A37A0 0000B70B
	v_mov_b32_e32 v168, 0                                      // 00000000544C: 7F500280
	s_mov_b64 exec, s[88:89]                                   // 000000005450: BEFE0158
	buffer_load_dword v168, v248, s[16:19], 0 idxen            // 000000005454: E0502000 8004A8F8
	s_mov_b32 exec_lo, -1                                      // 00000000545C: BEFE00C1
	s_mov_b32 exec_hi, -1                                      // 000000005460: BEFF00C1
	v_mov_b32_e32 v169, 0                                      // 000000005464: 7F520280
	s_mov_b64 exec, s[88:89]                                   // 000000005468: BEFE0158
	buffer_load_dword v169, v249, s[16:19], 0 idxen            // 00000000546C: E0502000 8004A9F9
	s_mov_b32 exec_lo, -1                                      // 000000005474: BEFE00C1
	s_mov_b32 exec_hi, -1                                      // 000000005478: BEFF00C1
	v_mov_b32_e32 v170, 0                                      // 00000000547C: 7F540280
	s_mov_b64 exec, s[88:89]                                   // 000000005480: BEFE0158
	buffer_load_dword v170, v250, s[16:19], 0 idxen            // 000000005484: E0502000 8004AAFA
	s_mov_b32 exec_lo, -1                                      // 00000000548C: BEFE00C1
	s_mov_b32 exec_hi, -1                                      // 000000005490: BEFF00C1
	v_mov_b32_e32 v171, 0                                      // 000000005494: 7F560280
	s_mov_b64 exec, s[88:89]                                   // 000000005498: BEFE0158
	buffer_load_dword v171, v251, s[16:19], 0 idxen            // 00000000549C: E0502000 8004ABFB
	s_mov_b32 exec_lo, -1                                      // 0000000054A4: BEFE00C1
	s_mov_b32 exec_hi, -1                                      // 0000000054A8: BEFF00C1
	s_mul_i32 s60, 4, s7                                       // 0000000054AC: 923C0784
	s_cmp_lt_i32 1, s72                                        // 0000000054B0: BF044881
	s_cselect_b32 s60, s60, 0                                  // 0000000054B4: 853C803C
	v_add_u32_e32 v248, s60, v248                              // 0000000054B8: 69F1F03C
	v_add_u32_e32 v249, s60, v249                              // 0000000054BC: 69F3F23C
	v_add_u32_e32 v250, s60, v250                              // 0000000054C0: 69F5F43C
	v_add_u32_e32 v251, s60, v251                              // 0000000054C4: 69F7F63C
	v_mov_b32_e32 v172, 0                                      // 0000000054C8: 7F580280
	s_mov_b64 exec, s[88:89]                                   // 0000000054CC: BEFE0158
	buffer_load_dword v172, v248, s[16:19], 0 idxen            // 0000000054D0: E0502000 8004ACF8
	s_mov_b32 exec_lo, -1                                      // 0000000054D8: BEFE00C1
	s_mov_b32 exec_hi, -1                                      // 0000000054DC: BEFF00C1
	v_mov_b32_e32 v173, 0                                      // 0000000054E0: 7F5A0280
	s_mov_b64 exec, s[88:89]                                   // 0000000054E4: BEFE0158
	buffer_load_dword v173, v249, s[16:19], 0 idxen            // 0000000054E8: E0502000 8004ADF9
	s_mov_b32 exec_lo, -1                                      // 0000000054F0: BEFE00C1
	s_mov_b32 exec_hi, -1                                      // 0000000054F4: BEFF00C1
	v_mov_b32_e32 v174, 0                                      // 0000000054F8: 7F5C0280
	s_mov_b64 exec, s[88:89]                                   // 0000000054FC: BEFE0158
	buffer_load_dword v174, v250, s[16:19], 0 idxen            // 000000005500: E0502000 8004AEFA
	s_mov_b32 exec_lo, -1                                      // 000000005508: BEFE00C1
	s_mov_b32 exec_hi, -1                                      // 00000000550C: BEFF00C1
	v_mov_b32_e32 v175, 0                                      // 000000005510: 7F5E0280
	s_mov_b64 exec, s[88:89]                                   // 000000005514: BEFE0158
	buffer_load_dword v175, v251, s[16:19], 0 idxen            // 000000005518: E0502000 8004AFFB
	s_mov_b32 exec_lo, -1                                      // 000000005520: BEFE00C1
	s_mov_b32 exec_hi, -1                                      // 000000005524: BEFF00C1
	s_mul_i32 s60, 4, s7                                       // 000000005528: 923C0784
	s_cmp_lt_i32 1, s72                                        // 00000000552C: BF044881
	s_cselect_b32 s60, s60, 0                                  // 000000005530: 853C803C
	v_add_u32_e32 v248, s60, v248                              // 000000005534: 69F1F03C
	v_add_u32_e32 v249, s60, v249                              // 000000005538: 69F3F23C
	v_add_u32_e32 v250, s60, v250                              // 00000000553C: 69F5F43C
	v_add_u32_e32 v251, s60, v251                              // 000000005540: 69F7F63C
	v_mov_b32_e32 v176, 0                                      // 000000005544: 7F600280
	s_mov_b64 exec, s[88:89]                                   // 000000005548: BEFE0158
	buffer_load_dword v176, v248, s[16:19], 0 idxen            // 00000000554C: E0502000 8004B0F8
	s_mov_b32 exec_lo, -1                                      // 000000005554: BEFE00C1
	s_mov_b32 exec_hi, -1                                      // 000000005558: BEFF00C1
	v_mov_b32_e32 v177, 0                                      // 00000000555C: 7F620280
	s_mov_b64 exec, s[88:89]                                   // 000000005560: BEFE0158
	buffer_load_dword v177, v249, s[16:19], 0 idxen            // 000000005564: E0502000 8004B1F9
	s_mov_b32 exec_lo, -1                                      // 00000000556C: BEFE00C1
	s_mov_b32 exec_hi, -1                                      // 000000005570: BEFF00C1
	v_mov_b32_e32 v178, 0                                      // 000000005574: 7F640280
	s_mov_b64 exec, s[88:89]                                   // 000000005578: BEFE0158
	buffer_load_dword v178, v250, s[16:19], 0 idxen            // 00000000557C: E0502000 8004B2FA
	s_mov_b32 exec_lo, -1                                      // 000000005584: BEFE00C1
	s_mov_b32 exec_hi, -1                                      // 000000005588: BEFF00C1
	v_mov_b32_e32 v179, 0                                      // 00000000558C: 7F660280
	s_mov_b64 exec, s[88:89]                                   // 000000005590: BEFE0158
	buffer_load_dword v179, v251, s[16:19], 0 idxen            // 000000005594: E0502000 8004B3FB
	s_mov_b32 exec_lo, -1                                      // 00000000559C: BEFE00C1
	s_mov_b32 exec_hi, -1                                      // 0000000055A0: BEFF00C1
	s_mul_i32 s60, 4, s7                                       // 0000000055A4: 923C0784
	s_cmp_lt_i32 1, s72                                        // 0000000055A8: BF044881
	s_cselect_b32 s60, s60, 0                                  // 0000000055AC: 853C803C
	v_add_u32_e32 v248, s60, v248                              // 0000000055B0: 69F1F03C
	v_add_u32_e32 v249, s60, v249                              // 0000000055B4: 69F3F23C
	v_add_u32_e32 v250, s60, v250                              // 0000000055B8: 69F5F43C
	v_add_u32_e32 v251, s60, v251                              // 0000000055BC: 69F7F63C
	v_mov_b32_e32 v180, 0                                      // 0000000055C0: 7F680280
	s_mov_b64 exec, s[88:89]                                   // 0000000055C4: BEFE0158
	buffer_load_dword v180, v248, s[16:19], 0 idxen            // 0000000055C8: E0502000 8004B4F8
	s_mov_b32 exec_lo, -1                                      // 0000000055D0: BEFE00C1
	s_mov_b32 exec_hi, -1                                      // 0000000055D4: BEFF00C1
	v_mov_b32_e32 v181, 0                                      // 0000000055D8: 7F6A0280
	s_mov_b64 exec, s[88:89]                                   // 0000000055DC: BEFE0158
	buffer_load_dword v181, v249, s[16:19], 0 idxen            // 0000000055E0: E0502000 8004B5F9
	s_mov_b32 exec_lo, -1                                      // 0000000055E8: BEFE00C1
	s_mov_b32 exec_hi, -1                                      // 0000000055EC: BEFF00C1
	v_mov_b32_e32 v182, 0                                      // 0000000055F0: 7F6C0280
	s_mov_b64 exec, s[88:89]                                   // 0000000055F4: BEFE0158
	buffer_load_dword v182, v250, s[16:19], 0 idxen            // 0000000055F8: E0502000 8004B6FA
	s_mov_b32 exec_lo, -1                                      // 000000005600: BEFE00C1
	s_mov_b32 exec_hi, -1                                      // 000000005604: BEFF00C1
	v_mov_b32_e32 v183, 0                                      // 000000005608: 7F6E0280
	s_mov_b64 exec, s[88:89]                                   // 00000000560C: BEFE0158
	buffer_load_dword v183, v251, s[16:19], 0 idxen            // 000000005610: E0502000 8004B7FB
	s_mov_b32 exec_lo, -1                                      // 000000005618: BEFE00C1
	s_mov_b32 exec_hi, -1                                      // 00000000561C: BEFF00C1
	s_mul_i32 s60, 4, s7                                       // 000000005620: 923C0784
	s_cmp_lt_i32 2, s72                                        // 000000005624: BF044882
	s_cselect_b32 s60, s60, 0                                  // 000000005628: 853C803C
	v_add_u32_e32 v248, s60, v248                              // 00000000562C: 69F1F03C
	v_add_u32_e32 v249, s60, v249                              // 000000005630: 69F3F23C
	v_add_u32_e32 v250, s60, v250                              // 000000005634: 69F5F43C
	v_add_u32_e32 v251, s60, v251                              // 000000005638: 69F7F63C
	s_waitcnt lgkmcnt(0)                                       // 00000000563C: BF8CC07F
	s_barrier                                                  // 000000005640: BF8A0000
	ds_read_b128 a[64:67], v23 offset:17408                    // 000000005644: DBFE4400 40000017
	ds_read_b128 a[68:71], v23 offset:17664                    // 00000000564C: DBFE4500 44000017
	ds_read_b128 a[72:75], v23 offset:26112                    // 000000005654: DBFE6600 48000017
	ds_read_b128 a[76:79], v23 offset:26368                    // 00000000565C: DBFE6700 4C000017
	ds_read_b128 a[16:19], v22                                 // 000000005664: DBFE0000 10000016
	ds_read_b128 a[20:23], v22 offset:512                      // 00000000566C: DBFE0200 14000016
	ds_read_b128 a[24:27], v22 offset:2176                     // 000000005674: DBFE0880 18000016
	ds_read_b128 a[28:31], v22 offset:2688                     // 00000000567C: DBFE0A80 1C000016
	s_waitcnt vmcnt(32) lgkmcnt(0)                             // 000000005684: BF8C8070
	s_barrier                                                  // 000000005688: BF8A0000
	s_cmp_lt_i32 2, s72                                        // 00000000568C: BF044882
	s_cbranch_scc1 label_0635                                  // 000000005690: BF850010
	v_mov_b32_e32 v184, 0                                      // 000000005694: 7F700280
	v_mov_b32_e32 v185, 0                                      // 000000005698: 7F720280
	v_mov_b32_e32 v186, 0                                      // 00000000569C: 7F740280
	v_mov_b32_e32 v187, 0                                      // 0000000056A0: 7F760280
	v_mov_b32_e32 v188, 0                                      // 0000000056A4: 7F780280
	v_mov_b32_e32 v189, 0                                      // 0000000056A8: 7F7A0280
	v_mov_b32_e32 v190, 0                                      // 0000000056AC: 7F7C0280
	v_mov_b32_e32 v191, 0                                      // 0000000056B0: 7F7E0280
	v_mov_b32_e32 v192, 0                                      // 0000000056B4: 7F800280
	v_mov_b32_e32 v193, 0                                      // 0000000056B8: 7F820280
	v_mov_b32_e32 v194, 0                                      // 0000000056BC: 7F840280
	v_mov_b32_e32 v195, 0                                      // 0000000056C0: 7F860280
	v_mov_b32_e32 v196, 0                                      // 0000000056C4: 7F880280
	v_mov_b32_e32 v197, 0                                      // 0000000056C8: 7F8A0280
	v_mov_b32_e32 v198, 0                                      // 0000000056CC: 7F8C0280
	v_mov_b32_e32 v199, 0                                      // 0000000056D0: 7F8E0280

00000000000056d4 <label_0635>:
	v_perm_b32 v200, v185, v184, s63                           // 0000000056D4: D1ED00C8 00FF71B9
	v_perm_b32 v201, v185, v184, s64                           // 0000000056DC: D1ED00C9 010371B9
	v_perm_b32 v202, v187, v186, s63                           // 0000000056E4: D1ED00CA 00FF75BB
	v_perm_b32 v203, v187, v186, s64                           // 0000000056EC: D1ED00CB 010375BB
	v_perm_b32 v204, v189, v188, s63                           // 0000000056F4: D1ED00CC 00FF79BD
	v_perm_b32 v205, v189, v188, s64                           // 0000000056FC: D1ED00CD 010379BD
	v_perm_b32 v206, v191, v190, s63                           // 000000005704: D1ED00CE 00FF7DBF
	v_perm_b32 v207, v191, v190, s64                           // 00000000570C: D1ED00CF 01037DBF
	v_perm_b32 v208, v193, v192, s63                           // 000000005714: D1ED00D0 00FF81C1
	v_perm_b32 v209, v193, v192, s64                           // 00000000571C: D1ED00D1 010381C1
	v_perm_b32 v210, v195, v194, s63                           // 000000005724: D1ED00D2 00FF85C3
	v_perm_b32 v211, v195, v194, s64                           // 00000000572C: D1ED00D3 010385C3
	v_perm_b32 v212, v197, v196, s63                           // 000000005734: D1ED00D4 00FF89C5
	v_perm_b32 v213, v197, v196, s64                           // 00000000573C: D1ED00D5 010389C5
	v_perm_b32 v214, v199, v198, s63                           // 000000005744: D1ED00D6 00FF8DC7
	v_perm_b32 v215, v199, v198, s64                           // 00000000574C: D1ED00D7 01038DC7
	ds_write_b32 v13, v200 offset:17408                        // 000000005754: D81A4400 0000C80D
	ds_write_b32 v13, v201 offset:18464                        // 00000000575C: D81A4820 0000C90D
	ds_write_b32 v13, v202 offset:17536                        // 000000005764: D81A4480 0000CA0D
	ds_write_b32 v13, v203 offset:18592                        // 00000000576C: D81A48A0 0000CB0D
	ds_write_b32 v13, v204 offset:21760                        // 000000005774: D81A5500 0000CC0D
	ds_write_b32 v13, v205 offset:22816                        // 00000000577C: D81A5920 0000CD0D
	ds_write_b32 v13, v206 offset:21888                        // 000000005784: D81A5580 0000CE0D
	ds_write_b32 v13, v207 offset:22944                        // 00000000578C: D81A59A0 0000CF0D
	ds_write_b32 v13, v208 offset:26112                        // 000000005794: D81A6600 0000D00D
	ds_write_b32 v13, v209 offset:27168                        // 00000000579C: D81A6A20 0000D10D
	ds_write_b32 v13, v210 offset:26240                        // 0000000057A4: D81A6680 0000D20D
	ds_write_b32 v13, v211 offset:27296                        // 0000000057AC: D81A6AA0 0000D30D
	ds_write_b32 v13, v212 offset:30464                        // 0000000057B4: D81A7700 0000D40D
	ds_write_b32 v13, v213 offset:31520                        // 0000000057BC: D81A7B20 0000D50D
	ds_write_b32 v13, v214 offset:30592                        // 0000000057C4: D81A7780 0000D60D
	ds_write_b32 v13, v215 offset:31648                        // 0000000057CC: D81A7BA0 0000D70D
	ds_write_b32 v11, v184                                     // 0000000057D4: D81A0000 0000B80B
	ds_write_b32 v11, v185 offset:1056                         // 0000000057DC: D81A0420 0000B90B
	ds_write_b32 v11, v186 offset:128                          // 0000000057E4: D81A0080 0000BA0B
	ds_write_b32 v11, v187 offset:1184                         // 0000000057EC: D81A04A0 0000BB0B
	ds_write_b32 v11, v188 offset:4352                         // 0000000057F4: D81A1100 0000BC0B
	ds_write_b32 v11, v189 offset:5408                         // 0000000057FC: D81A1520 0000BD0B
	ds_write_b32 v11, v190 offset:4480                         // 000000005804: D81A1180 0000BE0B
	ds_write_b32 v11, v191 offset:5536                         // 00000000580C: D81A15A0 0000BF0B
	ds_write_b32 v11, v192 offset:8704                         // 000000005814: D81A2200 0000C00B
	ds_write_b32 v11, v193 offset:9760                         // 00000000581C: D81A2620 0000C10B
	ds_write_b32 v11, v194 offset:8832                         // 000000005824: D81A2280 0000C20B
	ds_write_b32 v11, v195 offset:9888                         // 00000000582C: D81A26A0 0000C30B
	ds_write_b32 v11, v196 offset:13056                        // 000000005834: D81A3300 0000C40B
	ds_write_b32 v11, v197 offset:14112                        // 00000000583C: D81A3720 0000C50B
	ds_write_b32 v11, v198 offset:13184                        // 000000005844: D81A3380 0000C60B
	ds_write_b32 v11, v199 offset:14240                        // 00000000584C: D81A37A0 0000C70B
	v_mov_b32_e32 v184, 0                                      // 000000005854: 7F700280
	s_mov_b64 exec, s[88:89]                                   // 000000005858: BEFE0158
	buffer_load_dword v184, v248, s[16:19], 0 idxen            // 00000000585C: E0502000 8004B8F8
	s_mov_b32 exec_lo, -1                                      // 000000005864: BEFE00C1
	s_mov_b32 exec_hi, -1                                      // 000000005868: BEFF00C1
	v_mov_b32_e32 v185, 0                                      // 00000000586C: 7F720280
	s_mov_b64 exec, s[88:89]                                   // 000000005870: BEFE0158
	buffer_load_dword v185, v249, s[16:19], 0 idxen            // 000000005874: E0502000 8004B9F9
	s_mov_b32 exec_lo, -1                                      // 00000000587C: BEFE00C1
	s_mov_b32 exec_hi, -1                                      // 000000005880: BEFF00C1
	v_mov_b32_e32 v186, 0                                      // 000000005884: 7F740280
	s_mov_b64 exec, s[88:89]                                   // 000000005888: BEFE0158
	buffer_load_dword v186, v250, s[16:19], 0 idxen            // 00000000588C: E0502000 8004BAFA
	s_mov_b32 exec_lo, -1                                      // 000000005894: BEFE00C1
	s_mov_b32 exec_hi, -1                                      // 000000005898: BEFF00C1
	v_mov_b32_e32 v187, 0                                      // 00000000589C: 7F760280
	s_mov_b64 exec, s[88:89]                                   // 0000000058A0: BEFE0158
	buffer_load_dword v187, v251, s[16:19], 0 idxen            // 0000000058A4: E0502000 8004BBFB
	s_mov_b32 exec_lo, -1                                      // 0000000058AC: BEFE00C1
	s_mov_b32 exec_hi, -1                                      // 0000000058B0: BEFF00C1
	s_mul_i32 s60, 4, s7                                       // 0000000058B4: 923C0784
	s_cmp_lt_i32 2, s72                                        // 0000000058B8: BF044882
	s_cselect_b32 s60, s60, 0                                  // 0000000058BC: 853C803C
	v_add_u32_e32 v248, s60, v248                              // 0000000058C0: 69F1F03C
	v_add_u32_e32 v249, s60, v249                              // 0000000058C4: 69F3F23C
	v_add_u32_e32 v250, s60, v250                              // 0000000058C8: 69F5F43C
	v_add_u32_e32 v251, s60, v251                              // 0000000058CC: 69F7F63C
	v_mov_b32_e32 v188, 0                                      // 0000000058D0: 7F780280
	s_mov_b64 exec, s[88:89]                                   // 0000000058D4: BEFE0158
	buffer_load_dword v188, v248, s[16:19], 0 idxen            // 0000000058D8: E0502000 8004BCF8
	s_mov_b32 exec_lo, -1                                      // 0000000058E0: BEFE00C1
	s_mov_b32 exec_hi, -1                                      // 0000000058E4: BEFF00C1
	v_mov_b32_e32 v189, 0                                      // 0000000058E8: 7F7A0280
	s_mov_b64 exec, s[88:89]                                   // 0000000058EC: BEFE0158
	buffer_load_dword v189, v249, s[16:19], 0 idxen            // 0000000058F0: E0502000 8004BDF9
	s_mov_b32 exec_lo, -1                                      // 0000000058F8: BEFE00C1
	s_mov_b32 exec_hi, -1                                      // 0000000058FC: BEFF00C1
	v_mov_b32_e32 v190, 0                                      // 000000005900: 7F7C0280
	s_mov_b64 exec, s[88:89]                                   // 000000005904: BEFE0158
	buffer_load_dword v190, v250, s[16:19], 0 idxen            // 000000005908: E0502000 8004BEFA
	s_mov_b32 exec_lo, -1                                      // 000000005910: BEFE00C1
	s_mov_b32 exec_hi, -1                                      // 000000005914: BEFF00C1
	v_mov_b32_e32 v191, 0                                      // 000000005918: 7F7E0280
	s_mov_b64 exec, s[88:89]                                   // 00000000591C: BEFE0158
	buffer_load_dword v191, v251, s[16:19], 0 idxen            // 000000005920: E0502000 8004BFFB
	s_mov_b32 exec_lo, -1                                      // 000000005928: BEFE00C1
	s_mov_b32 exec_hi, -1                                      // 00000000592C: BEFF00C1
	s_mul_i32 s60, 4, s7                                       // 000000005930: 923C0784
	s_cmp_lt_i32 2, s72                                        // 000000005934: BF044882
	s_cselect_b32 s60, s60, 0                                  // 000000005938: 853C803C
	v_add_u32_e32 v248, s60, v248                              // 00000000593C: 69F1F03C
	v_add_u32_e32 v249, s60, v249                              // 000000005940: 69F3F23C
	v_add_u32_e32 v250, s60, v250                              // 000000005944: 69F5F43C
	v_add_u32_e32 v251, s60, v251                              // 000000005948: 69F7F63C
	v_mov_b32_e32 v192, 0                                      // 00000000594C: 7F800280
	s_mov_b64 exec, s[88:89]                                   // 000000005950: BEFE0158
	buffer_load_dword v192, v248, s[16:19], 0 idxen            // 000000005954: E0502000 8004C0F8
	s_mov_b32 exec_lo, -1                                      // 00000000595C: BEFE00C1
	s_mov_b32 exec_hi, -1                                      // 000000005960: BEFF00C1
	v_mov_b32_e32 v193, 0                                      // 000000005964: 7F820280
	s_mov_b64 exec, s[88:89]                                   // 000000005968: BEFE0158
	buffer_load_dword v193, v249, s[16:19], 0 idxen            // 00000000596C: E0502000 8004C1F9
	s_mov_b32 exec_lo, -1                                      // 000000005974: BEFE00C1
	s_mov_b32 exec_hi, -1                                      // 000000005978: BEFF00C1
	v_mov_b32_e32 v194, 0                                      // 00000000597C: 7F840280
	s_mov_b64 exec, s[88:89]                                   // 000000005980: BEFE0158
	buffer_load_dword v194, v250, s[16:19], 0 idxen            // 000000005984: E0502000 8004C2FA
	s_mov_b32 exec_lo, -1                                      // 00000000598C: BEFE00C1
	s_mov_b32 exec_hi, -1                                      // 000000005990: BEFF00C1
	v_mov_b32_e32 v195, 0                                      // 000000005994: 7F860280
	s_mov_b64 exec, s[88:89]                                   // 000000005998: BEFE0158
	buffer_load_dword v195, v251, s[16:19], 0 idxen            // 00000000599C: E0502000 8004C3FB
	s_mov_b32 exec_lo, -1                                      // 0000000059A4: BEFE00C1
	s_mov_b32 exec_hi, -1                                      // 0000000059A8: BEFF00C1
	s_mul_i32 s60, 4, s7                                       // 0000000059AC: 923C0784
	s_cmp_lt_i32 2, s72                                        // 0000000059B0: BF044882
	s_cselect_b32 s60, s60, 0                                  // 0000000059B4: 853C803C
	v_add_u32_e32 v248, s60, v248                              // 0000000059B8: 69F1F03C
	v_add_u32_e32 v249, s60, v249                              // 0000000059BC: 69F3F23C
	v_add_u32_e32 v250, s60, v250                              // 0000000059C0: 69F5F43C
	v_add_u32_e32 v251, s60, v251                              // 0000000059C4: 69F7F63C
	v_mov_b32_e32 v196, 0                                      // 0000000059C8: 7F880280
	s_mov_b64 exec, s[88:89]                                   // 0000000059CC: BEFE0158
	buffer_load_dword v196, v248, s[16:19], 0 idxen            // 0000000059D0: E0502000 8004C4F8
	s_mov_b32 exec_lo, -1                                      // 0000000059D8: BEFE00C1
	s_mov_b32 exec_hi, -1                                      // 0000000059DC: BEFF00C1
	v_mov_b32_e32 v197, 0                                      // 0000000059E0: 7F8A0280
	s_mov_b64 exec, s[88:89]                                   // 0000000059E4: BEFE0158
	buffer_load_dword v197, v249, s[16:19], 0 idxen            // 0000000059E8: E0502000 8004C5F9
	s_mov_b32 exec_lo, -1                                      // 0000000059F0: BEFE00C1
	s_mov_b32 exec_hi, -1                                      // 0000000059F4: BEFF00C1
	v_mov_b32_e32 v198, 0                                      // 0000000059F8: 7F8C0280
	s_mov_b64 exec, s[88:89]                                   // 0000000059FC: BEFE0158
	buffer_load_dword v198, v250, s[16:19], 0 idxen            // 000000005A00: E0502000 8004C6FA
	s_mov_b32 exec_lo, -1                                      // 000000005A08: BEFE00C1
	s_mov_b32 exec_hi, -1                                      // 000000005A0C: BEFF00C1
	v_mov_b32_e32 v199, 0                                      // 000000005A10: 7F8E0280
	s_mov_b64 exec, s[88:89]                                   // 000000005A14: BEFE0158
	buffer_load_dword v199, v251, s[16:19], 0 idxen            // 000000005A18: E0502000 8004C7FB
	s_mov_b32 exec_lo, -1                                      // 000000005A20: BEFE00C1
	s_mov_b32 exec_hi, -1                                      // 000000005A24: BEFF00C1
	s_mul_i32 s60, 4, s7                                       // 000000005A28: 923C0784
	s_cmp_lt_i32 3, s72                                        // 000000005A2C: BF044883
	s_cselect_b32 s60, s60, 0                                  // 000000005A30: 853C803C
	v_add_u32_e32 v248, s60, v248                              // 000000005A34: 69F1F03C
	v_add_u32_e32 v249, s60, v249                              // 000000005A38: 69F3F23C
	v_add_u32_e32 v250, s60, v250                              // 000000005A3C: 69F5F43C
	v_add_u32_e32 v251, s60, v251                              // 000000005A40: 69F7F63C
	s_waitcnt lgkmcnt(0)                                       // 000000005A44: BF8CC07F
	s_barrier                                                  // 000000005A48: BF8A0000
	ds_read_b128 a[80:83], v23 offset:17408                    // 000000005A4C: DBFE4400 50000017
	ds_read_b128 a[84:87], v23 offset:17664                    // 000000005A54: DBFE4500 54000017
	ds_read_b128 a[88:91], v23 offset:26112                    // 000000005A5C: DBFE6600 58000017
	ds_read_b128 a[92:95], v23 offset:26368                    // 000000005A64: DBFE6700 5C000017
	ds_read_b128 a[32:35], v22                                 // 000000005A6C: DBFE0000 20000016
	ds_read_b128 a[36:39], v22 offset:512                      // 000000005A74: DBFE0200 24000016
	ds_read_b128 a[40:43], v22 offset:2176                     // 000000005A7C: DBFE0880 28000016
	ds_read_b128 a[44:47], v22 offset:2688                     // 000000005A84: DBFE0A80 2C000016
	s_waitcnt vmcnt(32) lgkmcnt(0)                             // 000000005A8C: BF8C8070
	s_barrier                                                  // 000000005A90: BF8A0000
	s_cmp_lt_i32 0, s72                                        // 000000005A94: BF044880
	s_cbranch_scc1 label_0737                                  // 000000005A98: BF850010
	v_mov_b32_e32 v152, 0                                      // 000000005A9C: 7F300280
	v_mov_b32_e32 v153, 0                                      // 000000005AA0: 7F320280
	v_mov_b32_e32 v154, 0                                      // 000000005AA4: 7F340280
	v_mov_b32_e32 v155, 0                                      // 000000005AA8: 7F360280
	v_mov_b32_e32 v156, 0                                      // 000000005AAC: 7F380280
	v_mov_b32_e32 v157, 0                                      // 000000005AB0: 7F3A0280
	v_mov_b32_e32 v158, 0                                      // 000000005AB4: 7F3C0280
	v_mov_b32_e32 v159, 0                                      // 000000005AB8: 7F3E0280
	v_mov_b32_e32 v160, 0                                      // 000000005ABC: 7F400280
	v_mov_b32_e32 v161, 0                                      // 000000005AC0: 7F420280
	v_mov_b32_e32 v162, 0                                      // 000000005AC4: 7F440280
	v_mov_b32_e32 v163, 0                                      // 000000005AC8: 7F460280
	v_mov_b32_e32 v164, 0                                      // 000000005ACC: 7F480280
	v_mov_b32_e32 v165, 0                                      // 000000005AD0: 7F4A0280
	v_mov_b32_e32 v166, 0                                      // 000000005AD4: 7F4C0280
	v_mov_b32_e32 v167, 0                                      // 000000005AD8: 7F4E0280

0000000000005adc <label_0737>:
	ds_write_b32 v11, v152                                     // 000000005ADC: D81A0000 0000980B
	ds_write_b32 v11, v153 offset:1056                         // 000000005AE4: D81A0420 0000990B
	ds_write_b32 v11, v154 offset:128                          // 000000005AEC: D81A0080 00009A0B
	ds_write_b32 v11, v155 offset:1184                         // 000000005AF4: D81A04A0 00009B0B
	ds_write_b32 v11, v156 offset:4352                         // 000000005AFC: D81A1100 00009C0B
	ds_write_b32 v11, v157 offset:5408                         // 000000005B04: D81A1520 00009D0B
	ds_write_b32 v11, v158 offset:4480                         // 000000005B0C: D81A1180 00009E0B
	ds_write_b32 v11, v159 offset:5536                         // 000000005B14: D81A15A0 00009F0B
	ds_write_b32 v11, v160 offset:8704                         // 000000005B1C: D81A2200 0000A00B
	ds_write_b32 v11, v161 offset:9760                         // 000000005B24: D81A2620 0000A10B
	ds_write_b32 v11, v162 offset:8832                         // 000000005B2C: D81A2280 0000A20B
	ds_write_b32 v11, v163 offset:9888                         // 000000005B34: D81A26A0 0000A30B
	ds_write_b32 v11, v164 offset:13056                        // 000000005B3C: D81A3300 0000A40B
	ds_write_b32 v11, v165 offset:14112                        // 000000005B44: D81A3720 0000A50B
	ds_write_b32 v11, v166 offset:13184                        // 000000005B4C: D81A3380 0000A60B
	ds_write_b32 v11, v167 offset:14240                        // 000000005B54: D81A37A0 0000A70B
	s_mov_b32 s71, s5                                          // 000000005B5C: BEC70005
	v_lshrrev_b32_e32 v28, 4, v0                               // 000000005B60: 20380084
	v_and_b32_e32 v29, 1, v28                                  // 000000005B64: 263A3881
	v_lshlrev_b32_e32 v29, 1, v29                              // 000000005B68: 243A3A81
	v_mul_i32_i24_e32 v29, s71, v29                            // 000000005B6C: 0C3A3A47
	v_and_b32_e32 v30, 2, v28                                  // 000000005B70: 263C3882
	v_lshlrev_b32_e32 v30, 5, v30                              // 000000005B74: 243C3C85
	v_add_u32_e32 v29, v30, v29                                // 000000005B78: 683A3B1E
	v_and_b32_e32 v28, 15, v0                                  // 000000005B7C: 2638008F
	v_lshlrev_b32_e32 v28, 2, v28                              // 000000005B80: 24383882
	v_add_u32_e32 v1, v28, v29                                 // 000000005B84: 68023B1C
	s_and_b32 s60, 1, s46                                      // 000000005B88: 863C2E81
	s_mul_i32 s60, s60, s71                                    // 000000005B8C: 923C473C
	s_mul_i32 s60, s60, 8                                      // 000000005B90: 923C883C
	s_lshr_b32 s61, s46, 1                                     // 000000005B94: 8F3D812E
	s_mul_i32 s61, s61, 0x80                                   // 000000005B98: 923DFF3D 00000080
	s_add_u32 s60, s60, s61                                    // 000000005BA0: 803C3D3C
	v_add_u32_e32 v1, s60, v1                                  // 000000005BA4: 6802023C
	v_add_u32_e32 v2, s71, v1                                  // 000000005BA8: 68040247
	s_mul_i32 s60, 4, s71                                      // 000000005BAC: 923C4784
	v_add_u32_e32 v3, s60, v1                                  // 000000005BB0: 6806023C
	v_add_u32_e32 v4, s60, v2                                  // 000000005BB4: 6808043C
	s_mov_b32 s71, s51                                         // 000000005BB8: BEC70033
	v_lshrrev_b32_e32 v28, 4, v0                               // 000000005BBC: 20380084
	v_and_b32_e32 v29, 1, v28                                  // 000000005BC0: 263A3881
	v_lshlrev_b32_e32 v29, 1, v29                              // 000000005BC4: 243A3A81
	v_mul_i32_i24_e32 v29, s71, v29                            // 000000005BC8: 0C3A3A47
	v_and_b32_e32 v30, 2, v28                                  // 000000005BCC: 263C3882
	v_lshlrev_b32_e32 v30, 5, v30                              // 000000005BD0: 243C3C85
	v_add_u32_e32 v29, v30, v29                                // 000000005BD4: 683A3B1E
	v_and_b32_e32 v28, 15, v0                                  // 000000005BD8: 2638008F
	v_lshlrev_b32_e32 v28, 2, v28                              // 000000005BDC: 24383882
	v_add_u32_e32 v248, v28, v29                               // 000000005BE0: 69F03B1C
	s_and_b32 s60, 1, s46                                      // 000000005BE4: 863C2E81
	s_mul_i32 s60, s60, s71                                    // 000000005BE8: 923C473C
	s_mul_i32 s60, s60, 8                                      // 000000005BEC: 923C883C
	s_lshr_b32 s61, s46, 1                                     // 000000005BF0: 8F3D812E
	s_mul_i32 s61, s61, 0x80                                   // 000000005BF4: 923DFF3D 00000080
	s_add_u32 s60, s60, s61                                    // 000000005BFC: 803C3D3C
	v_add_u32_e32 v248, s60, v248                              // 000000005C00: 69F1F03C
	v_add_u32_e32 v249, s71, v248                              // 000000005C04: 69F3F047
	s_mul_i32 s60, 4, s71                                      // 000000005C08: 923C4784
	v_add_u32_e32 v250, s60, v248                              // 000000005C0C: 69F5F03C
	v_add_u32_e32 v251, s60, v249                              // 000000005C10: 69F7F23C
	v_lshrrev_b32_e32 v1, 2, v1                                // 000000005C14: 20020282
	v_lshrrev_b32_e32 v2, 2, v2                                // 000000005C18: 20040482
	v_lshrrev_b32_e32 v3, 2, v3                                // 000000005C1C: 20060682
	v_lshrrev_b32_e32 v4, 2, v4                                // 000000005C20: 20080882
	v_lshrrev_b32_e32 v248, 2, v248                            // 000000005C24: 21F1F082
	v_lshrrev_b32_e32 v249, 2, v249                            // 000000005C28: 21F3F282
	v_lshrrev_b32_e32 v250, 2, v250                            // 000000005C2C: 21F5F482
	v_lshrrev_b32_e32 v251, 2, v251                            // 000000005C30: 21F7F682
	v_mov_b32_e32 v32, 0                                       // 000000005C34: 7E400280
	s_mov_b64 exec, s[88:89]                                   // 000000005C38: BEFE0158
	buffer_load_dword v32, v1, s[8:11], 0 idxen                // 000000005C3C: E0502000 80022001
	s_mov_b32 exec_lo, -1                                      // 000000005C44: BEFE00C1
	s_mov_b32 exec_hi, -1                                      // 000000005C48: BEFF00C1
	v_mov_b32_e32 v33, 0                                       // 000000005C4C: 7E420280
	s_mov_b64 exec, s[88:89]                                   // 000000005C50: BEFE0158
	buffer_load_dword v33, v2, s[8:11], 0 idxen                // 000000005C54: E0502000 80022102
	s_mov_b32 exec_lo, -1                                      // 000000005C5C: BEFE00C1
	s_mov_b32 exec_hi, -1                                      // 000000005C60: BEFF00C1
	v_mov_b32_e32 v34, 0                                       // 000000005C64: 7E440280
	s_mov_b64 exec, s[88:89]                                   // 000000005C68: BEFE0158
	buffer_load_dword v34, v3, s[8:11], 0 idxen                // 000000005C6C: E0502000 80022203
	s_mov_b32 exec_lo, -1                                      // 000000005C74: BEFE00C1
	s_mov_b32 exec_hi, -1                                      // 000000005C78: BEFF00C1
	v_mov_b32_e32 v35, 0                                       // 000000005C7C: 7E460280
	s_mov_b64 exec, s[88:89]                                   // 000000005C80: BEFE0158
	buffer_load_dword v35, v4, s[8:11], 0 idxen                // 000000005C84: E0502000 80022304
	s_mov_b32 exec_lo, -1                                      // 000000005C8C: BEFE00C1
	s_mov_b32 exec_hi, -1                                      // 000000005C90: BEFF00C1
	v_mov_b32_e32 v40, 0                                       // 000000005C94: 7E500280
	s_mov_b64 exec, s[88:89]                                   // 000000005C98: BEFE0158
	buffer_load_dword v40, v248, s[20:23], 0 idxen             // 000000005C9C: E0502000 800528F8
	s_mov_b32 exec_lo, -1                                      // 000000005CA4: BEFE00C1
	s_mov_b32 exec_hi, -1                                      // 000000005CA8: BEFF00C1
	v_mov_b32_e32 v41, 0                                       // 000000005CAC: 7E520280
	s_mov_b64 exec, s[88:89]                                   // 000000005CB0: BEFE0158
	buffer_load_dword v41, v249, s[20:23], 0 idxen             // 000000005CB4: E0502000 800529F9
	s_mov_b32 exec_lo, -1                                      // 000000005CBC: BEFE00C1
	s_mov_b32 exec_hi, -1                                      // 000000005CC0: BEFF00C1
	v_mov_b32_e32 v42, 0                                       // 000000005CC4: 7E540280
	s_mov_b64 exec, s[88:89]                                   // 000000005CC8: BEFE0158
	buffer_load_dword v42, v250, s[20:23], 0 idxen             // 000000005CCC: E0502000 80052AFA
	s_mov_b32 exec_lo, -1                                      // 000000005CD4: BEFE00C1
	s_mov_b32 exec_hi, -1                                      // 000000005CD8: BEFF00C1
	v_mov_b32_e32 v43, 0                                       // 000000005CDC: 7E560280
	s_mov_b64 exec, s[88:89]                                   // 000000005CE0: BEFE0158
	buffer_load_dword v43, v251, s[20:23], 0 idxen             // 000000005CE4: E0502000 80052BFB
	s_mov_b32 exec_lo, -1                                      // 000000005CEC: BEFE00C1
	s_mov_b32 exec_hi, -1                                      // 000000005CF0: BEFF00C1
	s_waitcnt lgkmcnt(0)                                       // 000000005CF4: BF8CC07F
	s_barrier                                                  // 000000005CF8: BF8A0000
	ds_read_b128 a[96:99], v22                                 // 000000005CFC: DBFE0000 60000016
	ds_read_b128 a[100:103], v22 offset:512                    // 000000005D04: DBFE0200 64000016
	ds_read_b128 a[104:107], v22 offset:2176                   // 000000005D0C: DBFE0880 68000016
	ds_read_b128 a[108:111], v22 offset:2688                   // 000000005D14: DBFE0A80 6C000016
	v_add_u32_e32 v1, s68, v1                                  // 000000005D1C: 68020244
	v_add_u32_e32 v2, s68, v2                                  // 000000005D20: 68040444
	v_add_u32_e32 v3, s68, v3                                  // 000000005D24: 68060644
	v_add_u32_e32 v4, s68, v4                                  // 000000005D28: 68080844
	v_add_u32_e32 v248, s99, v248                              // 000000005D2C: 69F1F063
	v_add_u32_e32 v249, s99, v249                              // 000000005D30: 69F3F263
	v_add_u32_e32 v250, s99, v250                              // 000000005D34: 69F5F463
	v_add_u32_e32 v251, s99, v251                              // 000000005D38: 69F7F663
	s_waitcnt vmcnt(24) lgkmcnt(0)                             // 000000005D3C: BF8C4078
	s_barrier                                                  // 000000005D40: BF8A0000
	s_cmp_lt_i32 1, s72                                        // 000000005D44: BF044881
	s_cbranch_scc1 label_07E3                                  // 000000005D48: BF850010
	v_mov_b32_e32 v168, 0                                      // 000000005D4C: 7F500280
	v_mov_b32_e32 v169, 0                                      // 000000005D50: 7F520280
	v_mov_b32_e32 v170, 0                                      // 000000005D54: 7F540280
	v_mov_b32_e32 v171, 0                                      // 000000005D58: 7F560280
	v_mov_b32_e32 v172, 0                                      // 000000005D5C: 7F580280
	v_mov_b32_e32 v173, 0                                      // 000000005D60: 7F5A0280
	v_mov_b32_e32 v174, 0                                      // 000000005D64: 7F5C0280
	v_mov_b32_e32 v175, 0                                      // 000000005D68: 7F5E0280
	v_mov_b32_e32 v176, 0                                      // 000000005D6C: 7F600280
	v_mov_b32_e32 v177, 0                                      // 000000005D70: 7F620280
	v_mov_b32_e32 v178, 0                                      // 000000005D74: 7F640280
	v_mov_b32_e32 v179, 0                                      // 000000005D78: 7F660280
	v_mov_b32_e32 v180, 0                                      // 000000005D7C: 7F680280
	v_mov_b32_e32 v181, 0                                      // 000000005D80: 7F6A0280
	v_mov_b32_e32 v182, 0                                      // 000000005D84: 7F6C0280
	v_mov_b32_e32 v183, 0                                      // 000000005D88: 7F6E0280

0000000000005d8c <label_07E3>:
	ds_write_b32 v11, v168                                     // 000000005D8C: D81A0000 0000A80B
	ds_write_b32 v11, v169 offset:1056                         // 000000005D94: D81A0420 0000A90B
	ds_write_b32 v11, v170 offset:128                          // 000000005D9C: D81A0080 0000AA0B
	ds_write_b32 v11, v171 offset:1184                         // 000000005DA4: D81A04A0 0000AB0B
	ds_write_b32 v11, v172 offset:4352                         // 000000005DAC: D81A1100 0000AC0B
	ds_write_b32 v11, v173 offset:5408                         // 000000005DB4: D81A1520 0000AD0B
	ds_write_b32 v11, v174 offset:4480                         // 000000005DBC: D81A1180 0000AE0B
	ds_write_b32 v11, v175 offset:5536                         // 000000005DC4: D81A15A0 0000AF0B
	ds_write_b32 v11, v176 offset:8704                         // 000000005DCC: D81A2200 0000B00B
	ds_write_b32 v11, v177 offset:9760                         // 000000005DD4: D81A2620 0000B10B
	ds_write_b32 v11, v178 offset:8832                         // 000000005DDC: D81A2280 0000B20B
	ds_write_b32 v11, v179 offset:9888                         // 000000005DE4: D81A26A0 0000B30B
	ds_write_b32 v11, v180 offset:13056                        // 000000005DEC: D81A3300 0000B40B
	ds_write_b32 v11, v181 offset:14112                        // 000000005DF4: D81A3720 0000B50B
	ds_write_b32 v11, v182 offset:13184                        // 000000005DFC: D81A3380 0000B60B
	ds_write_b32 v11, v183 offset:14240                        // 000000005E04: D81A37A0 0000B70B
	v_mov_b32_e32 v36, 0                                       // 000000005E0C: 7E480280
	s_mov_b64 exec, s[88:89]                                   // 000000005E10: BEFE0158
	buffer_load_dword v36, v1, s[8:11], 0 idxen                // 000000005E14: E0502000 80022401
	s_mov_b32 exec_lo, -1                                      // 000000005E1C: BEFE00C1
	s_mov_b32 exec_hi, -1                                      // 000000005E20: BEFF00C1
	v_mov_b32_e32 v37, 0                                       // 000000005E24: 7E4A0280
	s_mov_b64 exec, s[88:89]                                   // 000000005E28: BEFE0158
	buffer_load_dword v37, v2, s[8:11], 0 idxen                // 000000005E2C: E0502000 80022502
	s_mov_b32 exec_lo, -1                                      // 000000005E34: BEFE00C1
	s_mov_b32 exec_hi, -1                                      // 000000005E38: BEFF00C1
	v_mov_b32_e32 v38, 0                                       // 000000005E3C: 7E4C0280
	s_mov_b64 exec, s[88:89]                                   // 000000005E40: BEFE0158
	buffer_load_dword v38, v3, s[8:11], 0 idxen                // 000000005E44: E0502000 80022603
	s_mov_b32 exec_lo, -1                                      // 000000005E4C: BEFE00C1
	s_mov_b32 exec_hi, -1                                      // 000000005E50: BEFF00C1
	v_mov_b32_e32 v39, 0                                       // 000000005E54: 7E4E0280
	s_mov_b64 exec, s[88:89]                                   // 000000005E58: BEFE0158
	buffer_load_dword v39, v4, s[8:11], 0 idxen                // 000000005E5C: E0502000 80022704
	s_mov_b32 exec_lo, -1                                      // 000000005E64: BEFE00C1
	s_mov_b32 exec_hi, -1                                      // 000000005E68: BEFF00C1
	v_mov_b32_e32 v44, 0                                       // 000000005E6C: 7E580280
	s_mov_b64 exec, s[88:89]                                   // 000000005E70: BEFE0158
	buffer_load_dword v44, v248, s[20:23], 0 idxen             // 000000005E74: E0502000 80052CF8
	s_mov_b32 exec_lo, -1                                      // 000000005E7C: BEFE00C1
	s_mov_b32 exec_hi, -1                                      // 000000005E80: BEFF00C1
	v_mov_b32_e32 v45, 0                                       // 000000005E84: 7E5A0280
	s_mov_b64 exec, s[88:89]                                   // 000000005E88: BEFE0158
	buffer_load_dword v45, v249, s[20:23], 0 idxen             // 000000005E8C: E0502000 80052DF9
	s_mov_b32 exec_lo, -1                                      // 000000005E94: BEFE00C1
	s_mov_b32 exec_hi, -1                                      // 000000005E98: BEFF00C1
	v_mov_b32_e32 v46, 0                                       // 000000005E9C: 7E5C0280
	s_mov_b64 exec, s[88:89]                                   // 000000005EA0: BEFE0158
	buffer_load_dword v46, v250, s[20:23], 0 idxen             // 000000005EA4: E0502000 80052EFA
	s_mov_b32 exec_lo, -1                                      // 000000005EAC: BEFE00C1
	s_mov_b32 exec_hi, -1                                      // 000000005EB0: BEFF00C1
	v_mov_b32_e32 v47, 0                                       // 000000005EB4: 7E5E0280
	s_mov_b64 exec, s[88:89]                                   // 000000005EB8: BEFE0158
	buffer_load_dword v47, v251, s[20:23], 0 idxen             // 000000005EBC: E0502000 80052FFB
	s_mov_b32 exec_lo, -1                                      // 000000005EC4: BEFE00C1
	s_mov_b32 exec_hi, -1                                      // 000000005EC8: BEFF00C1
	s_waitcnt lgkmcnt(0)                                       // 000000005ECC: BF8CC07F
	s_barrier                                                  // 000000005ED0: BF8A0000
	ds_read_b128 a[112:115], v22                               // 000000005ED4: DBFE0000 70000016
	ds_read_b128 a[116:119], v22 offset:512                    // 000000005EDC: DBFE0200 74000016
	ds_read_b128 a[120:123], v22 offset:2176                   // 000000005EE4: DBFE0880 78000016
	ds_read_b128 a[124:127], v22 offset:2688                   // 000000005EEC: DBFE0A80 7C000016
	v_add_u32_e32 v1, s68, v1                                  // 000000005EF4: 68020244
	v_add_u32_e32 v2, s68, v2                                  // 000000005EF8: 68040444
	v_add_u32_e32 v3, s68, v3                                  // 000000005EFC: 68060644
	v_add_u32_e32 v4, s68, v4                                  // 000000005F00: 68080844
	v_add_u32_e32 v248, s99, v248                              // 000000005F04: 69F1F063
	v_add_u32_e32 v249, s99, v249                              // 000000005F08: 69F3F263
	v_add_u32_e32 v250, s99, v250                              // 000000005F0C: 69F5F463
	v_add_u32_e32 v251, s99, v251                              // 000000005F10: 69F7F663
	s_waitcnt vmcnt(16) lgkmcnt(0)                             // 000000005F14: BF8C4070
	s_barrier                                                  // 000000005F18: BF8A0000
	s_cmp_lt_i32 2, s72                                        // 000000005F1C: BF044882
	s_cbranch_scc1 label_0859                                  // 000000005F20: BF850010
	v_mov_b32_e32 v184, 0                                      // 000000005F24: 7F700280
	v_mov_b32_e32 v185, 0                                      // 000000005F28: 7F720280
	v_mov_b32_e32 v186, 0                                      // 000000005F2C: 7F740280
	v_mov_b32_e32 v187, 0                                      // 000000005F30: 7F760280
	v_mov_b32_e32 v188, 0                                      // 000000005F34: 7F780280
	v_mov_b32_e32 v189, 0                                      // 000000005F38: 7F7A0280
	v_mov_b32_e32 v190, 0                                      // 000000005F3C: 7F7C0280
	v_mov_b32_e32 v191, 0                                      // 000000005F40: 7F7E0280
	v_mov_b32_e32 v192, 0                                      // 000000005F44: 7F800280
	v_mov_b32_e32 v193, 0                                      // 000000005F48: 7F820280
	v_mov_b32_e32 v194, 0                                      // 000000005F4C: 7F840280
	v_mov_b32_e32 v195, 0                                      // 000000005F50: 7F860280
	v_mov_b32_e32 v196, 0                                      // 000000005F54: 7F880280
	v_mov_b32_e32 v197, 0                                      // 000000005F58: 7F8A0280
	v_mov_b32_e32 v198, 0                                      // 000000005F5C: 7F8C0280
	v_mov_b32_e32 v199, 0                                      // 000000005F60: 7F8E0280

0000000000005f64 <label_0859>:
	ds_write_b32 v11, v184                                     // 000000005F64: D81A0000 0000B80B
	ds_write_b32 v11, v185 offset:1056                         // 000000005F6C: D81A0420 0000B90B
	ds_write_b32 v11, v186 offset:128                          // 000000005F74: D81A0080 0000BA0B
	ds_write_b32 v11, v187 offset:1184                         // 000000005F7C: D81A04A0 0000BB0B
	ds_write_b32 v11, v188 offset:4352                         // 000000005F84: D81A1100 0000BC0B
	ds_write_b32 v11, v189 offset:5408                         // 000000005F8C: D81A1520 0000BD0B
	ds_write_b32 v11, v190 offset:4480                         // 000000005F94: D81A1180 0000BE0B
	ds_write_b32 v11, v191 offset:5536                         // 000000005F9C: D81A15A0 0000BF0B
	ds_write_b32 v11, v192 offset:8704                         // 000000005FA4: D81A2200 0000C00B
	ds_write_b32 v11, v193 offset:9760                         // 000000005FAC: D81A2620 0000C10B
	ds_write_b32 v11, v194 offset:8832                         // 000000005FB4: D81A2280 0000C20B
	ds_write_b32 v11, v195 offset:9888                         // 000000005FBC: D81A26A0 0000C30B
	ds_write_b32 v11, v196 offset:13056                        // 000000005FC4: D81A3300 0000C40B
	ds_write_b32 v11, v197 offset:14112                        // 000000005FCC: D81A3720 0000C50B
	ds_write_b32 v11, v198 offset:13184                        // 000000005FD4: D81A3380 0000C60B
	ds_write_b32 v11, v199 offset:14240                        // 000000005FDC: D81A37A0 0000C70B
	s_waitcnt lgkmcnt(0)                                       // 000000005FE4: BF8CC07F
	s_barrier                                                  // 000000005FE8: BF8A0000
	ds_read_b128 a[128:131], v22                               // 000000005FEC: DBFE0000 80000016
	ds_read_b128 a[132:135], v22 offset:512                    // 000000005FF4: DBFE0200 84000016
	ds_read_b128 a[136:139], v22 offset:2176                   // 000000005FFC: DBFE0880 88000016
	ds_read_b128 a[140:143], v22 offset:2688                   // 000000006004: DBFE0A80 8C000016
	s_waitcnt vmcnt(8) lgkmcnt(0)                              // 00000000600C: BF8C0078
	s_barrier                                                  // 000000006010: BF8A0000
	buffer_load_dword v9, s[24:27], 0 idxen lds                // 000000006014: E0512000 80060009
	s_mov_b32 m0, s79                                          // 00000000601C: BEFC004F
	v_add_u32_e32 v9, s69, v9                                  // 000000006020: 68121245
	v_perm_b32 v84, v33, v32, s63                              // 000000006024: D1ED0054 00FE4121
	v_perm_b32 v85, v33, v32, s64                              // 00000000602C: D1ED0055 01024121
	v_perm_b32 v86, v35, v34, s63                              // 000000006034: D1ED0056 00FE4523
	v_perm_b32 v87, v35, v34, s64                              // 00000000603C: D1ED0057 01024523
	ds_write_b32 v13, v84 offset:4352                          // 000000006044: D81A1100 0000540D
	ds_write_b32 v13, v85 offset:5408                          // 00000000604C: D81A1520 0000550D
	ds_write_b32 v13, v86 offset:4480                          // 000000006054: D81A1180 0000560D
	ds_write_b32 v13, v87 offset:5536                          // 00000000605C: D81A15A0 0000570D
	ds_write_b32 v11, v32                                      // 000000006064: D81A0000 0000200B
	ds_write_b32 v11, v33 offset:1056                          // 00000000606C: D81A0420 0000210B
	ds_write_b32 v11, v34 offset:128                           // 000000006074: D81A0080 0000220B
	ds_write_b32 v11, v35 offset:1184                          // 00000000607C: D81A04A0 0000230B
	buffer_load_dword v9, s[24:27], 0 idxen lds                // 000000006084: E0512000 80060009
	s_mov_b32 m0, s78                                          // 00000000608C: BEFC004E
	v_add_u32_e32 v9, s69, v9                                  // 000000006090: 68121245
	v_perm_b32 v88, v41, v40, s63                              // 000000006094: D1ED0058 00FE5129
	v_perm_b32 v89, v41, v40, s64                              // 00000000609C: D1ED0059 01025129
	v_perm_b32 v90, v43, v42, s63                              // 0000000060A4: D1ED005A 00FE552B
	v_perm_b32 v91, v43, v42, s64                              // 0000000060AC: D1ED005B 0102552B
	ds_write_b32 v13, v88 offset:13056                         // 0000000060B4: D81A3300 0000580D
	ds_write_b32 v13, v89 offset:14112                         // 0000000060BC: D81A3720 0000590D
	ds_write_b32 v13, v90 offset:13184                         // 0000000060C4: D81A3380 00005A0D
	ds_write_b32 v13, v91 offset:14240                         // 0000000060CC: D81A37A0 00005B0D
	ds_write_b32 v11, v40 offset:8704                          // 0000000060D4: D81A2200 0000280B
	ds_write_b32 v11, v41 offset:9760                          // 0000000060DC: D81A2620 0000290B
	ds_write_b32 v11, v42 offset:8832                          // 0000000060E4: D81A2280 00002A0B
	ds_write_b32 v11, v43 offset:9888                          // 0000000060EC: D81A26A0 00002B0B
	s_waitcnt vmcnt(1) lgkmcnt(0)                              // 0000000060F4: BF8C0071
	s_barrier                                                  // 0000000060F8: BF8A0000
	ds_read_b128 a[144:147], v10                               // 0000000060FC: DBFE0000 9000000A
	ds_read_b128 a[148:151], v10 offset:512                    // 000000006104: DBFE0200 9400000A
	ds_read_b128 a[152:155], v10 offset:2176                   // 00000000610C: DBFE0880 9800000A
	ds_read_b128 a[156:159], v10 offset:2688                   // 000000006114: DBFE0A80 9C00000A
	ds_read_b128 v[92:95], v10 offset:8704                     // 00000000611C: D9FE2200 5C00000A
	ds_read_b128 v[96:99], v10 offset:9216                     // 000000006124: D9FE2400 6000000A
	ds_read_b128 v[100:103], v10 offset:10880                  // 00000000612C: D9FE2A80 6400000A
	ds_read_b128 v[104:107], v10 offset:11392                  // 000000006134: D9FE2C80 6800000A
	ds_read_b32 v124, v21 offset:50688                         // 00000000613C: D86CC600 7C000015
	ds_read_b32 v150, v21 offset:50944                         // 000000006144: D86CC700 96000015
	v_accvgpr_write_b32 a160, 0                                // 00000000614C: D3D940A0 18000080
	v_mov_b32_e32 v152, 0                                      // 000000006154: 7F300280
	v_accvgpr_write_b32 a161, 0                                // 000000006158: D3D940A1 18000080
	v_mov_b32_e32 v153, 0                                      // 000000006160: 7F320280
	v_accvgpr_write_b32 a162, 0                                // 000000006164: D3D940A2 18000080
	v_mov_b32_e32 v154, 0                                      // 00000000616C: 7F340280
	v_accvgpr_write_b32 a163, 0                                // 000000006170: D3D940A3 18000080
	v_mov_b32_e32 v155, 0                                      // 000000006178: 7F360280
	v_accvgpr_write_b32 a164, 0                                // 00000000617C: D3D940A4 18000080
	v_mov_b32_e32 v156, 0                                      // 000000006184: 7F380280
	v_accvgpr_write_b32 a165, 0                                // 000000006188: D3D940A5 18000080
	v_mov_b32_e32 v157, 0                                      // 000000006190: 7F3A0280
	v_accvgpr_write_b32 a166, 0                                // 000000006194: D3D940A6 18000080
	v_mov_b32_e32 v158, 0                                      // 00000000619C: 7F3C0280
	v_accvgpr_write_b32 a167, 0                                // 0000000061A0: D3D940A7 18000080
	v_mov_b32_e32 v159, 0                                      // 0000000061A8: 7F3E0280
	v_accvgpr_write_b32 a168, 0                                // 0000000061AC: D3D940A8 18000080
	v_mov_b32_e32 v160, 0                                      // 0000000061B4: 7F400280
	v_accvgpr_write_b32 a169, 0                                // 0000000061B8: D3D940A9 18000080
	v_mov_b32_e32 v161, 0                                      // 0000000061C0: 7F420280
	v_accvgpr_write_b32 a170, 0                                // 0000000061C4: D3D940AA 18000080
	v_mov_b32_e32 v162, 0                                      // 0000000061CC: 7F440280
	v_accvgpr_write_b32 a171, 0                                // 0000000061D0: D3D940AB 18000080
	v_mov_b32_e32 v163, 0                                      // 0000000061D8: 7F460280
	v_accvgpr_write_b32 a172, 0                                // 0000000061DC: D3D940AC 18000080
	v_mov_b32_e32 v164, 0                                      // 0000000061E4: 7F480280
	v_accvgpr_write_b32 a173, 0                                // 0000000061E8: D3D940AD 18000080
	v_mov_b32_e32 v165, 0                                      // 0000000061F0: 7F4A0280
	v_accvgpr_write_b32 a174, 0                                // 0000000061F4: D3D940AE 18000080
	v_mov_b32_e32 v166, 0                                      // 0000000061FC: 7F4C0280
	v_accvgpr_write_b32 a175, 0                                // 000000006200: D3D940AF 18000080
	v_mov_b32_e32 v167, 0                                      // 000000006208: 7F4E0280
	v_accvgpr_write_b32 a176, 0                                // 00000000620C: D3D940B0 18000080
	v_mov_b32_e32 v168, 0                                      // 000000006214: 7F500280
	v_accvgpr_write_b32 a177, 0                                // 000000006218: D3D940B1 18000080
	v_mov_b32_e32 v169, 0                                      // 000000006220: 7F520280
	v_accvgpr_write_b32 a178, 0                                // 000000006224: D3D940B2 18000080
	v_mov_b32_e32 v170, 0                                      // 00000000622C: 7F540280
	v_accvgpr_write_b32 a179, 0                                // 000000006230: D3D940B3 18000080
	v_mov_b32_e32 v171, 0                                      // 000000006238: 7F560280
	v_accvgpr_write_b32 a180, 0                                // 00000000623C: D3D940B4 18000080
	v_mov_b32_e32 v172, 0                                      // 000000006244: 7F580280
	v_accvgpr_write_b32 a181, 0                                // 000000006248: D3D940B5 18000080
	v_mov_b32_e32 v173, 0                                      // 000000006250: 7F5A0280
	v_accvgpr_write_b32 a182, 0                                // 000000006254: D3D940B6 18000080
	v_mov_b32_e32 v174, 0                                      // 00000000625C: 7F5C0280
	v_accvgpr_write_b32 a183, 0                                // 000000006260: D3D940B7 18000080
	v_mov_b32_e32 v175, 0                                      // 000000006268: 7F5E0280
	v_accvgpr_write_b32 a184, 0                                // 00000000626C: D3D940B8 18000080
	v_mov_b32_e32 v176, 0                                      // 000000006274: 7F600280
	v_accvgpr_write_b32 a185, 0                                // 000000006278: D3D940B9 18000080
	v_mov_b32_e32 v177, 0                                      // 000000006280: 7F620280
	v_accvgpr_write_b32 a186, 0                                // 000000006284: D3D940BA 18000080
	v_mov_b32_e32 v178, 0                                      // 00000000628C: 7F640280
	v_accvgpr_write_b32 a187, 0                                // 000000006290: D3D940BB 18000080
	v_mov_b32_e32 v179, 0                                      // 000000006298: 7F660280
	v_accvgpr_write_b32 a188, 0                                // 00000000629C: D3D940BC 18000080
	v_mov_b32_e32 v180, 0                                      // 0000000062A4: 7F680280
	v_accvgpr_write_b32 a189, 0                                // 0000000062A8: D3D940BD 18000080
	v_mov_b32_e32 v181, 0                                      // 0000000062B0: 7F6A0280
	v_accvgpr_write_b32 a190, 0                                // 0000000062B4: D3D940BE 18000080
	v_mov_b32_e32 v182, 0                                      // 0000000062BC: 7F6C0280
	v_accvgpr_write_b32 a191, 0                                // 0000000062C0: D3D940BF 18000080
	v_mov_b32_e32 v183, 0                                      // 0000000062C8: 7F6E0280
	v_accvgpr_write_b32 a192, 0                                // 0000000062CC: D3D940C0 18000080
	v_mov_b32_e32 v184, 0                                      // 0000000062D4: 7F700280
	v_accvgpr_write_b32 a193, 0                                // 0000000062D8: D3D940C1 18000080
	v_mov_b32_e32 v185, 0                                      // 0000000062E0: 7F720280
	v_accvgpr_write_b32 a194, 0                                // 0000000062E4: D3D940C2 18000080
	v_mov_b32_e32 v186, 0                                      // 0000000062EC: 7F740280
	v_accvgpr_write_b32 a195, 0                                // 0000000062F0: D3D940C3 18000080
	v_mov_b32_e32 v187, 0                                      // 0000000062F8: 7F760280
	v_accvgpr_write_b32 a196, 0                                // 0000000062FC: D3D940C4 18000080
	v_mov_b32_e32 v188, 0                                      // 000000006304: 7F780280
	v_accvgpr_write_b32 a197, 0                                // 000000006308: D3D940C5 18000080
	v_mov_b32_e32 v189, 0                                      // 000000006310: 7F7A0280
	v_accvgpr_write_b32 a198, 0                                // 000000006314: D3D940C6 18000080
	v_mov_b32_e32 v190, 0                                      // 00000000631C: 7F7C0280
	v_accvgpr_write_b32 a199, 0                                // 000000006320: D3D940C7 18000080
	v_mov_b32_e32 v191, 0                                      // 000000006328: 7F7E0280
	v_accvgpr_write_b32 a200, 0                                // 00000000632C: D3D940C8 18000080
	v_mov_b32_e32 v192, 0                                      // 000000006334: 7F800280
	v_accvgpr_write_b32 a201, 0                                // 000000006338: D3D940C9 18000080
	v_mov_b32_e32 v193, 0                                      // 000000006340: 7F820280
	v_accvgpr_write_b32 a202, 0                                // 000000006344: D3D940CA 18000080
	v_mov_b32_e32 v194, 0                                      // 00000000634C: 7F840280
	v_accvgpr_write_b32 a203, 0                                // 000000006350: D3D940CB 18000080
	v_mov_b32_e32 v195, 0                                      // 000000006358: 7F860280
	v_accvgpr_write_b32 a204, 0                                // 00000000635C: D3D940CC 18000080
	v_mov_b32_e32 v196, 0                                      // 000000006364: 7F880280
	v_accvgpr_write_b32 a205, 0                                // 000000006368: D3D940CD 18000080
	v_mov_b32_e32 v197, 0                                      // 000000006370: 7F8A0280
	v_accvgpr_write_b32 a206, 0                                // 000000006374: D3D940CE 18000080
	v_mov_b32_e32 v198, 0                                      // 00000000637C: 7F8C0280
	v_accvgpr_write_b32 a207, 0                                // 000000006380: D3D940CF 18000080
	v_mov_b32_e32 v199, 0                                      // 000000006388: 7F8E0280
	v_accvgpr_write_b32 a208, 0                                // 00000000638C: D3D940D0 18000080
	v_mov_b32_e32 v200, 0                                      // 000000006394: 7F900280
	v_accvgpr_write_b32 a209, 0                                // 000000006398: D3D940D1 18000080
	v_mov_b32_e32 v201, 0                                      // 0000000063A0: 7F920280
	v_accvgpr_write_b32 a210, 0                                // 0000000063A4: D3D940D2 18000080
	v_mov_b32_e32 v202, 0                                      // 0000000063AC: 7F940280
	v_accvgpr_write_b32 a211, 0                                // 0000000063B0: D3D940D3 18000080
	v_mov_b32_e32 v203, 0                                      // 0000000063B8: 7F960280
	v_accvgpr_write_b32 a212, 0                                // 0000000063BC: D3D940D4 18000080
	v_mov_b32_e32 v204, 0                                      // 0000000063C4: 7F980280
	v_accvgpr_write_b32 a213, 0                                // 0000000063C8: D3D940D5 18000080
	v_mov_b32_e32 v205, 0                                      // 0000000063D0: 7F9A0280
	v_accvgpr_write_b32 a214, 0                                // 0000000063D4: D3D940D6 18000080
	v_mov_b32_e32 v206, 0                                      // 0000000063DC: 7F9C0280
	v_accvgpr_write_b32 a215, 0                                // 0000000063E0: D3D940D7 18000080
	v_mov_b32_e32 v207, 0                                      // 0000000063E8: 7F9E0280
	v_accvgpr_write_b32 a216, 0                                // 0000000063EC: D3D940D8 18000080
	v_mov_b32_e32 v208, 0                                      // 0000000063F4: 7FA00280
	v_accvgpr_write_b32 a217, 0                                // 0000000063F8: D3D940D9 18000080
	v_mov_b32_e32 v209, 0                                      // 000000006400: 7FA20280
	v_accvgpr_write_b32 a218, 0                                // 000000006404: D3D940DA 18000080
	v_mov_b32_e32 v210, 0                                      // 00000000640C: 7FA40280
	v_accvgpr_write_b32 a219, 0                                // 000000006410: D3D940DB 18000080
	v_mov_b32_e32 v211, 0                                      // 000000006418: 7FA60280
	v_accvgpr_write_b32 a220, 0                                // 00000000641C: D3D940DC 18000080
	v_mov_b32_e32 v212, 0                                      // 000000006424: 7FA80280
	v_accvgpr_write_b32 a221, 0                                // 000000006428: D3D940DD 18000080
	v_mov_b32_e32 v213, 0                                      // 000000006430: 7FAA0280
	v_accvgpr_write_b32 a222, 0                                // 000000006434: D3D940DE 18000080
	v_mov_b32_e32 v214, 0                                      // 00000000643C: 7FAC0280
	v_accvgpr_write_b32 a223, 0                                // 000000006440: D3D940DF 18000080
	v_mov_b32_e32 v215, 0                                      // 000000006448: 7FAE0280
	v_accvgpr_write_b32 a224, 0                                // 00000000644C: D3D940E0 18000080
	v_mov_b32_e32 v216, 0                                      // 000000006454: 7FB00280
	v_accvgpr_write_b32 a225, 0                                // 000000006458: D3D940E1 18000080
	v_mov_b32_e32 v217, 0                                      // 000000006460: 7FB20280
	v_accvgpr_write_b32 a226, 0                                // 000000006464: D3D940E2 18000080
	v_mov_b32_e32 v218, 0                                      // 00000000646C: 7FB40280
	v_accvgpr_write_b32 a227, 0                                // 000000006470: D3D940E3 18000080
	v_mov_b32_e32 v219, 0                                      // 000000006478: 7FB60280
	v_accvgpr_write_b32 a228, 0                                // 00000000647C: D3D940E4 18000080
	v_mov_b32_e32 v220, 0                                      // 000000006484: 7FB80280
	v_accvgpr_write_b32 a229, 0                                // 000000006488: D3D940E5 18000080
	v_mov_b32_e32 v221, 0                                      // 000000006490: 7FBA0280
	v_accvgpr_write_b32 a230, 0                                // 000000006494: D3D940E6 18000080
	v_mov_b32_e32 v222, 0                                      // 00000000649C: 7FBC0280
	v_accvgpr_write_b32 a231, 0                                // 0000000064A0: D3D940E7 18000080
	v_mov_b32_e32 v223, 0                                      // 0000000064A8: 7FBE0280
	v_accvgpr_write_b32 a232, 0                                // 0000000064AC: D3D940E8 18000080
	v_mov_b32_e32 v224, 0                                      // 0000000064B4: 7FC00280
	v_accvgpr_write_b32 a233, 0                                // 0000000064B8: D3D940E9 18000080
	v_mov_b32_e32 v225, 0                                      // 0000000064C0: 7FC20280
	v_accvgpr_write_b32 a234, 0                                // 0000000064C4: D3D940EA 18000080
	v_mov_b32_e32 v226, 0                                      // 0000000064CC: 7FC40280
	v_accvgpr_write_b32 a235, 0                                // 0000000064D0: D3D940EB 18000080
	v_mov_b32_e32 v227, 0                                      // 0000000064D8: 7FC60280
	v_accvgpr_write_b32 a236, 0                                // 0000000064DC: D3D940EC 18000080
	v_mov_b32_e32 v228, 0                                      // 0000000064E4: 7FC80280
	v_accvgpr_write_b32 a237, 0                                // 0000000064E8: D3D940ED 18000080
	v_mov_b32_e32 v229, 0                                      // 0000000064F0: 7FCA0280
	v_accvgpr_write_b32 a238, 0                                // 0000000064F4: D3D940EE 18000080
	v_mov_b32_e32 v230, 0                                      // 0000000064FC: 7FCC0280
	v_accvgpr_write_b32 a239, 0                                // 000000006500: D3D940EF 18000080
	v_mov_b32_e32 v231, 0                                      // 000000006508: 7FCE0280
	v_accvgpr_write_b32 a240, 0                                // 00000000650C: D3D940F0 18000080
	v_mov_b32_e32 v232, 0                                      // 000000006514: 7FD00280
	v_accvgpr_write_b32 a241, 0                                // 000000006518: D3D940F1 18000080
	v_mov_b32_e32 v233, 0                                      // 000000006520: 7FD20280
	v_accvgpr_write_b32 a242, 0                                // 000000006524: D3D940F2 18000080
	v_mov_b32_e32 v234, 0                                      // 00000000652C: 7FD40280
	v_accvgpr_write_b32 a243, 0                                // 000000006530: D3D940F3 18000080
	v_mov_b32_e32 v235, 0                                      // 000000006538: 7FD60280
	v_accvgpr_write_b32 a244, 0                                // 00000000653C: D3D940F4 18000080
	v_mov_b32_e32 v236, 0                                      // 000000006544: 7FD80280
	v_accvgpr_write_b32 a245, 0                                // 000000006548: D3D940F5 18000080
	v_mov_b32_e32 v237, 0                                      // 000000006550: 7FDA0280
	v_accvgpr_write_b32 a246, 0                                // 000000006554: D3D940F6 18000080
	v_mov_b32_e32 v238, 0                                      // 00000000655C: 7FDC0280
	v_accvgpr_write_b32 a247, 0                                // 000000006560: D3D940F7 18000080
	v_mov_b32_e32 v239, 0                                      // 000000006568: 7FDE0280
	v_accvgpr_write_b32 a248, 0                                // 00000000656C: D3D940F8 18000080
	v_mov_b32_e32 v240, 0                                      // 000000006574: 7FE00280
	v_accvgpr_write_b32 a249, 0                                // 000000006578: D3D940F9 18000080
	v_mov_b32_e32 v241, 0                                      // 000000006580: 7FE20280
	v_accvgpr_write_b32 a250, 0                                // 000000006584: D3D940FA 18000080
	v_mov_b32_e32 v242, 0                                      // 00000000658C: 7FE40280
	v_accvgpr_write_b32 a251, 0                                // 000000006590: D3D940FB 18000080
	v_mov_b32_e32 v243, 0                                      // 000000006598: 7FE60280
	v_accvgpr_write_b32 a252, 0                                // 00000000659C: D3D940FC 18000080
	v_mov_b32_e32 v244, 0                                      // 0000000065A4: 7FE80280
	v_accvgpr_write_b32 a253, 0                                // 0000000065A8: D3D940FD 18000080
	v_mov_b32_e32 v245, 0                                      // 0000000065B0: 7FEA0280
	v_accvgpr_write_b32 a254, 0                                // 0000000065B4: D3D940FE 18000080
	v_mov_b32_e32 v246, 0                                      // 0000000065BC: 7FEC0280
	v_accvgpr_write_b32 a255, 0                                // 0000000065C0: D3D940FF 18000080
	v_mov_b32_e32 v247, 0                                      // 0000000065C8: 7FEE0280
	v_mov_b32_e32 v136, 0                                      // 0000000065CC: 7F100280
	v_mov_b32_e32 v137, 0                                      // 0000000065D0: 7F120280
	v_mov_b32_e32 v138, 0                                      // 0000000065D4: 7F140280
	v_mov_b32_e32 v139, 0                                      // 0000000065D8: 7F160280
	v_mov_b32_e32 v140, 0                                      // 0000000065DC: 7F180280
	v_mov_b32_e32 v141, 0                                      // 0000000065E0: 7F1A0280
	v_mov_b32_e32 v142, 0                                      // 0000000065E4: 7F1C0280
	v_mov_b32_e32 v143, 0                                      // 0000000065E8: 7F1E0280
	v_mov_b32_e32 v128, 0                                      // 0000000065EC: 7F000280
	v_mov_b32_e32 v129, 0                                      // 0000000065F0: 7F020280
	v_mov_b32_e32 v130, 0                                      // 0000000065F4: 7F040280
	v_mov_b32_e32 v131, 0                                      // 0000000065F8: 7F060280
	v_mov_b32_e32 v132, 0                                      // 0000000065FC: 7F080280
	v_mov_b32_e32 v133, 0                                      // 000000006600: 7F0A0280
	v_mov_b32_e32 v134, 0                                      // 000000006604: 7F0C0280
	v_mov_b32_e32 v135, 0                                      // 000000006608: 7F0E0280
	s_waitcnt lgkmcnt(0)                                       // 00000000660C: BF8CC07F
	s_barrier                                                  // 000000006610: BF8A0000
	v_mov_b32_e32 v32, 0                                       // 000000006614: 7E400280
	s_mov_b64 exec, s[88:89]                                   // 000000006618: BEFE0158
	buffer_load_dword v32, v1, s[8:11], 0 idxen                // 00000000661C: E0502000 80022001
	s_mov_b32 exec_lo, -1                                      // 000000006624: BEFE00C1
	s_mov_b32 exec_hi, -1                                      // 000000006628: BEFF00C1
	v_mov_b32_e32 v33, 0                                       // 00000000662C: 7E420280
	s_mov_b64 exec, s[88:89]                                   // 000000006630: BEFE0158
	buffer_load_dword v33, v2, s[8:11], 0 idxen                // 000000006634: E0502000 80022102
	s_mov_b32 exec_lo, -1                                      // 00000000663C: BEFE00C1
	s_mov_b32 exec_hi, -1                                      // 000000006640: BEFF00C1
	v_mov_b32_e32 v34, 0                                       // 000000006644: 7E440280
	s_mov_b64 exec, s[88:89]                                   // 000000006648: BEFE0158
	buffer_load_dword v34, v3, s[8:11], 0 idxen                // 00000000664C: E0502000 80022203
	s_mov_b32 exec_lo, -1                                      // 000000006654: BEFE00C1
	s_mov_b32 exec_hi, -1                                      // 000000006658: BEFF00C1
	v_mov_b32_e32 v35, 0                                       // 00000000665C: 7E460280
	s_mov_b64 exec, s[88:89]                                   // 000000006660: BEFE0158
	buffer_load_dword v35, v4, s[8:11], 0 idxen                // 000000006664: E0502000 80022304
	s_mov_b32 exec_lo, -1                                      // 00000000666C: BEFE00C1
	s_mov_b32 exec_hi, -1                                      // 000000006670: BEFF00C1
	v_mov_b32_e32 v40, 0                                       // 000000006674: 7E500280
	s_mov_b64 exec, s[88:89]                                   // 000000006678: BEFE0158
	buffer_load_dword v40, v248, s[20:23], 0 idxen             // 00000000667C: E0502000 800528F8
	s_mov_b32 exec_lo, -1                                      // 000000006684: BEFE00C1
	s_mov_b32 exec_hi, -1                                      // 000000006688: BEFF00C1
	v_mov_b32_e32 v41, 0                                       // 00000000668C: 7E520280
	s_mov_b64 exec, s[88:89]                                   // 000000006690: BEFE0158
	buffer_load_dword v41, v249, s[20:23], 0 idxen             // 000000006694: E0502000 800529F9
	s_mov_b32 exec_lo, -1                                      // 00000000669C: BEFE00C1
	s_mov_b32 exec_hi, -1                                      // 0000000066A0: BEFF00C1
	v_mov_b32_e32 v42, 0                                       // 0000000066A4: 7E540280
	s_mov_b64 exec, s[88:89]                                   // 0000000066A8: BEFE0158
	buffer_load_dword v42, v250, s[20:23], 0 idxen             // 0000000066AC: E0502000 80052AFA
	s_mov_b32 exec_lo, -1                                      // 0000000066B4: BEFE00C1
	s_mov_b32 exec_hi, -1                                      // 0000000066B8: BEFF00C1
	v_mov_b32_e32 v43, 0                                       // 0000000066BC: 7E560280
	s_mov_b64 exec, s[88:89]                                   // 0000000066C0: BEFE0158
	buffer_load_dword v43, v251, s[20:23], 0 idxen             // 0000000066C4: E0502000 80052BFB
	s_mov_b32 exec_lo, -1                                      // 0000000066CC: BEFE00C1
	s_mov_b32 exec_hi, -1                                      // 0000000066D0: BEFF00C1
	buffer_load_dword v9, s[24:27], 0 idxen lds                // 0000000066D4: E0512000 80060009
	s_mov_b32 m0, s79                                          // 0000000066DC: BEFC004F
	v_add_u32_e32 v9, s69, v9                                  // 0000000066E0: 68121245
	v_add_u32_e32 v1, s68, v1                                  // 0000000066E4: 68020244
	v_add_u32_e32 v2, s68, v2                                  // 0000000066E8: 68040444
	v_add_u32_e32 v3, s68, v3                                  // 0000000066EC: 68060644
	v_add_u32_e32 v4, s68, v4                                  // 0000000066F0: 68080844
	v_add_u32_e32 v248, s99, v248                              // 0000000066F4: 69F1F063
	v_add_u32_e32 v249, s99, v249                              // 0000000066F8: 69F3F263
	v_add_u32_e32 v250, s99, v250                              // 0000000066FC: 69F5F463
	v_add_u32_e32 v251, s99, v251                              // 000000006700: 69F7F663
	v_mul_f32_e32 v124, s48, v124                              // 000000006704: 0AF8F830
	v_perm_b32 v84, v37, v36, s63                              // 000000006708: D1ED0054 00FE4925
	v_perm_b32 v85, v37, v36, s64                              // 000000006710: D1ED0055 01024925
	v_perm_b32 v86, v39, v38, s63                              // 000000006718: D1ED0056 00FE4D27
	v_perm_b32 v87, v39, v38, s64                              // 000000006720: D1ED0057 01024D27
	v_perm_b32 v88, v45, v44, s63                              // 000000006728: D1ED0058 00FE592D
	v_perm_b32 v89, v45, v44, s64                              // 000000006730: D1ED0059 0102592D
	v_perm_b32 v90, v47, v46, s63                              // 000000006738: D1ED005A 00FE5D2F
	v_perm_b32 v91, v47, v46, s64                              // 000000006740: D1ED005B 01025D2F
	v_mov_b32_dpp v127, v124 quad_perm:[3,3,3,3] row_mask:0xf bank_mask:0xf// 000000006748: 7EFE02FA FF00FF7C
	v_mov_b32_dpp v126, v124 quad_perm:[2,2,2,2] row_mask:0xf bank_mask:0xf// 000000006750: 7EFC02FA FF00AA7C
	v_mov_b32_dpp v125, v124 quad_perm:[1,1,1,1] row_mask:0xf bank_mask:0xf// 000000006758: 7EFA02FA FF00557C
	v_mov_b32_dpp v124, v124 quad_perm:[0,0,0,0] row_mask:0xf bank_mask:0xf// 000000006760: 7EF802FA FF00007C
	s_waitcnt vmcnt(9)                                         // 000000006768: BF8C0F79
	s_barrier                                                  // 00000000676C: BF8A0000
	s_cmp_lt_i32 s46, 2                                        // 000000006770: BF04822E
	s_cbranch_scc0 label_10BA                                  // 000000006774: BF840652

0000000000006778 <label_0A5E>:
	s_waitcnt lgkmcnt(0)                                       // 000000006778: BF8CC07F
	s_barrier                                                  // 00000000677C: BF8A0000
	v_mfma_f32_16x16x16_f16 v[48:51], a[144:145], a[0:1], 0    // 000000006780: D3CD0030 1A020190
	ds_write_b32 v11, v44 offset:8704                          // 000000006788: D81A2200 00002C0B
	ds_write_b32 v11, v45 offset:9760                          // 000000006790: D81A2620 00002D0B
	v_mfma_f32_16x16x16_f16 v[48:51], a[146:147], a[2:3], v[48:51]// 000000006798: D3CD0030 1CC20592
	v_mul_f32_e32 v128, s47, v128                              // 0000000067A0: 0B01002F
	v_mul_f32_e32 v129, s47, v129                              // 0000000067A4: 0B03022F
	v_mfma_f32_16x16x16_f16 v[48:51], a[148:149], a[4:5], v[48:51]// 0000000067A8: D3CD0030 1CC20994
	ds_write_b32 v11, v46 offset:8832                          // 0000000067B0: D81A2280 00002E0B
	ds_write_b32 v11, v47 offset:9888                          // 0000000067B8: D81A26A0 00002F0B
	v_mfma_f32_16x16x16_f16 v[48:51], a[150:151], a[6:7], v[48:51]// 0000000067C0: D3CD0030 1CC20D96
	v_mul_f32_e32 v130, s47, v130                              // 0000000067C8: 0B05042F
	v_mul_f32_e32 v131, s47, v131                              // 0000000067CC: 0B07062F
	v_mfma_f32_16x16x16_f16 v[48:51], a[152:153], a[8:9], v[48:51]// 0000000067D0: D3CD0030 1CC21198
	ds_write_b64 v20, v[128:129] offset:24320                  // 0000000067D8: D89A5F00 00008014
	v_mfma_f32_16x16x16_f16 v[48:51], a[154:155], a[10:11], v[48:51]// 0000000067E0: D3CD0030 1CC2159A
	v_mul_f32_e32 v132, s47, v132                              // 0000000067E8: 0B09082F
	v_mul_f32_e32 v133, s47, v133                              // 0000000067EC: 0B0B0A2F
	v_mfma_f32_16x16x16_f16 v[48:51], a[156:157], a[12:13], v[48:51]// 0000000067F0: D3CD0030 1CC2199C
	ds_write_b64 v20, v[130:131] offset:24832                  // 0000000067F8: D89A6100 00008214
	v_mfma_f32_16x16x16_f16 v[48:51], a[158:159], a[14:15], v[48:51]// 000000006800: D3CD0030 1CC21D9E
	v_mul_f32_e32 v134, s47, v134                              // 000000006808: 0B0D0C2F
	v_mul_f32_e32 v135, s47, v135                              // 00000000680C: 0B0F0E2F
	v_mfma_f32_16x16x16_f16 v[52:55], a[144:145], a[16:17], 0  // 000000006810: D3CD0034 1A022190
	ds_write_b64 v20, v[132:133] offset:25344                  // 000000006818: D89A6300 00008414
	v_mfma_f32_16x16x16_f16 v[52:55], a[146:147], a[18:19], v[52:55]// 000000006820: D3CD0034 1CD22592
	buffer_atomic_add_f32 v140, v7, s[32:35], 0 offen offset:256// 000000006828: E1341100 80088C07
	v_mfma_f32_16x16x16_f16 v[52:55], a[148:149], a[20:21], v[52:55]// 000000006830: D3CD0034 1CD22994
	ds_write_b64 v20, v[134:135] offset:25856                  // 000000006838: D89A6500 00008614
	v_mfma_f32_16x16x16_f16 v[52:55], a[150:151], a[22:23], v[52:55]// 000000006840: D3CD0034 1CD22D96
	v_mfma_f32_16x16x16_f16 v[52:55], a[152:153], a[24:25], v[52:55]// 000000006848: D3CD0034 1CD23198
	ds_read_b128 v[108:111], v12 offset:13056                  // 000000006850: D9FE3300 6C00000C
	ds_write_b32 v11, v36                                      // 000000006858: D81A0000 0000240B
	v_mfma_f32_16x16x16_f16 v[52:55], a[154:155], a[26:27], v[52:55]// 000000006860: D3CD0034 1CD2359A
	buffer_atomic_add_f32 v141, v8, s[32:35], 0 offen offset:256// 000000006868: E1341100 80088D08
	v_mfma_f32_16x16x16_f16 v[52:55], a[156:157], a[28:29], v[52:55]// 000000006870: D3CD0034 1CD2399C
	v_mfma_f32_16x16x16_f16 v[52:55], a[158:159], a[30:31], v[52:55]// 000000006878: D3CD0034 1CD23D9E
	ds_read_b128 v[112:115], v12 offset:13568                  // 000000006880: D9FE3500 7000000C
	ds_write_b32 v11, v37 offset:1056                          // 000000006888: D81A0420 0000250B
	v_mfma_f32_16x16x16_f16 v[56:59], a[144:145], a[32:33], 0  // 000000006890: D3CD0038 1A024190
	buffer_atomic_add_f32 v142, v7, s[32:35], 0 offen offset:384// 000000006898: E1341180 80088E07
	v_mfma_f32_16x16x16_f16 v[56:59], a[146:147], a[34:35], v[56:59]// 0000000068A0: D3CD0038 1CE24592
	v_mfma_f32_16x16x16_f16 v[56:59], a[148:149], a[36:37], v[56:59]// 0000000068A8: D3CD0038 1CE24994
	ds_read_b128 v[116:119], v12 offset:15232                  // 0000000068B0: D9FE3B80 7400000C
	ds_write_b32 v11, v38 offset:128                           // 0000000068B8: D81A0080 0000260B
	v_mfma_f32_16x16x16_f16 v[56:59], a[150:151], a[38:39], v[56:59]// 0000000068C0: D3CD0038 1CE24D96
	v_mfma_f32_16x16x16_f16 v[56:59], a[152:153], a[40:41], v[56:59]// 0000000068C8: D3CD0038 1CE25198
	buffer_atomic_add_f32 v143, v8, s[32:35], 0 offen offset:384// 0000000068D0: E1341180 80088F08
	v_mfma_f32_16x16x16_f16 v[56:59], a[154:155], a[42:43], v[56:59]// 0000000068D8: D3CD0038 1CE2559A
	ds_read_b128 v[120:123], v12 offset:15744                  // 0000000068E0: D9FE3D80 7800000C
	ds_write_b32 v11, v39 offset:1184                          // 0000000068E8: D81A04A0 0000270B
	v_mfma_f32_16x16x16_f16 v[56:59], a[156:157], a[44:45], v[56:59]// 0000000068F0: D3CD0038 1CE2599C
	v_mfma_f32_16x16x16_f16 v[56:59], a[158:159], a[46:47], v[56:59]// 0000000068F8: D3CD0038 1CE25D9E
	s_cmp_lt_i32 s74, 12                                       // 000000006900: BF048C4A
	s_cbranch_scc0 label_0B37                                  // 000000006904: BF840075
	s_mov_b32 s60, 0xffe0fffe                                  // 000000006908: BEBC00FF FFE0FFFE
	s_mov_b32 s61, 0xe000fe00                                  // 000000006910: BEBD00FF E000FE00
	s_nop 0                                                    // 000000006918: BF800000
	s_add_u32 s62, 0, s46                                      // 00000000691C: 803E2E80
	s_cmp_lt_i32 s74, s62                                      // 000000006920: BF043E4A
	s_cbranch_scc1 label_0AF2                                  // 000000006924: BF850028
	s_cmp_eq_i32 s74, s62                                      // 000000006928: BF003E4A
	s_cbranch_scc1 label_0AD7                                  // 00000000692C: BF85000B
	s_add_u32 s62, 4, s46                                      // 000000006930: 803E2E84
	s_cmp_lt_i32 s74, s62                                      // 000000006934: BF043E4A
	s_cbranch_scc1 label_0B12                                  // 000000006938: BF850043
	s_cmp_eq_i32 s74, s62                                      // 00000000693C: BF003E4A
	s_cbranch_scc1 label_0AF7                                  // 000000006940: BF850026
	s_add_u32 s62, 8, s46                                      // 000000006944: 803E2E88
	s_cmp_lt_i32 s74, s62                                      // 000000006948: BF043E4A
	s_cbranch_scc1 label_0B32                                  // 00000000694C: BF85005E
	s_cmp_eq_i32 s74, s62                                      // 000000006950: BF003E4A
	s_cbranch_scc1 label_0B17                                  // 000000006954: BF850041
	s_branch label_0B37                                        // 000000006958: BF820060

000000000000695c <label_0AD7>:
	v_cndmask_b32_e64 v48, v48, v151, s[60:61]                 // 00000000695C: D1000030 00F32F30
	s_lshl_b32 s60, s60, 1                                     // 000000006964: 8E3C813C
	s_lshl_b32 s61, s61, 1                                     // 000000006968: 8E3D813D
	s_and_b32 s60, 0xfffeffff, s60                             // 00000000696C: 863C3CFF FFFEFFFF
	s_and_b32 s61, 0xfffeffff, s61                             // 000000006974: 863D3DFF FFFEFFFF
	v_cndmask_b32_e64 v49, v49, v151, s[60:61]                 // 00000000697C: D1000031 00F32F31
	s_lshl_b32 s60, s60, 1                                     // 000000006984: 8E3C813C
	s_lshl_b32 s61, s61, 1                                     // 000000006988: 8E3D813D
	s_and_b32 s60, 0xfffeffff, s60                             // 00000000698C: 863C3CFF FFFEFFFF
	s_and_b32 s61, 0xfffeffff, s61                             // 000000006994: 863D3DFF FFFEFFFF
	v_cndmask_b32_e64 v50, v50, v151, s[60:61]                 // 00000000699C: D1000032 00F32F32
	s_lshl_b32 s60, s60, 1                                     // 0000000069A4: 8E3C813C
	s_lshl_b32 s61, s61, 1                                     // 0000000069A8: 8E3D813D
	s_and_b32 s60, 0xfffeffff, s60                             // 0000000069AC: 863C3CFF FFFEFFFF
	s_and_b32 s61, 0xfffeffff, s61                             // 0000000069B4: 863D3DFF FFFEFFFF
	v_cndmask_b32_e64 v51, v51, v151, s[60:61]                 // 0000000069BC: D1000033 00F32F33
	s_branch label_0B12                                        // 0000000069C4: BF820020

00000000000069c8 <label_0AF2>:
	v_mov_b32_e32 v48, v151                                    // 0000000069C8: 7E600397
	v_mov_b32_e32 v49, v151                                    // 0000000069CC: 7E620397
	v_mov_b32_e32 v50, v151                                    // 0000000069D0: 7E640397
	v_mov_b32_e32 v51, v151                                    // 0000000069D4: 7E660397
	s_branch label_0B12                                        // 0000000069D8: BF82001B

00000000000069dc <label_0AF7>:
	v_cndmask_b32_e64 v52, v52, v151, s[60:61]                 // 0000000069DC: D1000034 00F32F34
	s_lshl_b32 s60, s60, 1                                     // 0000000069E4: 8E3C813C
	s_lshl_b32 s61, s61, 1                                     // 0000000069E8: 8E3D813D
	s_and_b32 s60, 0xfffeffff, s60                             // 0000000069EC: 863C3CFF FFFEFFFF
	s_and_b32 s61, 0xfffeffff, s61                             // 0000000069F4: 863D3DFF FFFEFFFF
	v_cndmask_b32_e64 v53, v53, v151, s[60:61]                 // 0000000069FC: D1000035 00F32F35
	s_lshl_b32 s60, s60, 1                                     // 000000006A04: 8E3C813C
	s_lshl_b32 s61, s61, 1                                     // 000000006A08: 8E3D813D
	s_and_b32 s60, 0xfffeffff, s60                             // 000000006A0C: 863C3CFF FFFEFFFF
	s_and_b32 s61, 0xfffeffff, s61                             // 000000006A14: 863D3DFF FFFEFFFF
	v_cndmask_b32_e64 v54, v54, v151, s[60:61]                 // 000000006A1C: D1000036 00F32F36
	s_lshl_b32 s60, s60, 1                                     // 000000006A24: 8E3C813C
	s_lshl_b32 s61, s61, 1                                     // 000000006A28: 8E3D813D
	s_and_b32 s60, 0xfffeffff, s60                             // 000000006A2C: 863C3CFF FFFEFFFF
	s_and_b32 s61, 0xfffeffff, s61                             // 000000006A34: 863D3DFF FFFEFFFF
	v_cndmask_b32_e64 v55, v55, v151, s[60:61]                 // 000000006A3C: D1000037 00F32F37
	s_branch label_0B32                                        // 000000006A44: BF820020

0000000000006a48 <label_0B12>:
	v_mov_b32_e32 v52, v151                                    // 000000006A48: 7E680397
	v_mov_b32_e32 v53, v151                                    // 000000006A4C: 7E6A0397
	v_mov_b32_e32 v54, v151                                    // 000000006A50: 7E6C0397
	v_mov_b32_e32 v55, v151                                    // 000000006A54: 7E6E0397
	s_branch label_0B32                                        // 000000006A58: BF82001B

0000000000006a5c <label_0B17>:
	v_cndmask_b32_e64 v56, v56, v151, s[60:61]                 // 000000006A5C: D1000038 00F32F38
	s_lshl_b32 s60, s60, 1                                     // 000000006A64: 8E3C813C
	s_lshl_b32 s61, s61, 1                                     // 000000006A68: 8E3D813D
	s_and_b32 s60, 0xfffeffff, s60                             // 000000006A6C: 863C3CFF FFFEFFFF
	s_and_b32 s61, 0xfffeffff, s61                             // 000000006A74: 863D3DFF FFFEFFFF
	v_cndmask_b32_e64 v57, v57, v151, s[60:61]                 // 000000006A7C: D1000039 00F32F39
	s_lshl_b32 s60, s60, 1                                     // 000000006A84: 8E3C813C
	s_lshl_b32 s61, s61, 1                                     // 000000006A88: 8E3D813D
	s_and_b32 s60, 0xfffeffff, s60                             // 000000006A8C: 863C3CFF FFFEFFFF
	s_and_b32 s61, 0xfffeffff, s61                             // 000000006A94: 863D3DFF FFFEFFFF
	v_cndmask_b32_e64 v58, v58, v151, s[60:61]                 // 000000006A9C: D100003A 00F32F3A
	s_lshl_b32 s60, s60, 1                                     // 000000006AA4: 8E3C813C
	s_lshl_b32 s61, s61, 1                                     // 000000006AA8: 8E3D813D
	s_and_b32 s60, 0xfffeffff, s60                             // 000000006AAC: 863C3CFF FFFEFFFF
	s_and_b32 s61, 0xfffeffff, s61                             // 000000006AB4: 863D3DFF FFFEFFFF
	v_cndmask_b32_e64 v59, v59, v151, s[60:61]                 // 000000006ABC: D100003B 00F32F3B
	s_branch label_0B37                                        // 000000006AC4: BF820005

0000000000006ac8 <label_0B32>:
	v_mov_b32_e32 v56, v151                                    // 000000006AC8: 7E700397
	v_mov_b32_e32 v57, v151                                    // 000000006ACC: 7E720397
	v_mov_b32_e32 v58, v151                                    // 000000006AD0: 7E740397
	v_mov_b32_e32 v59, v151                                    // 000000006AD4: 7E760397
	s_branch label_0B37                                        // 000000006AD8: BF820000

0000000000006adc <label_0B37>:
	s_cmp_lt_i32 s100, 0xc0                                    // 000000006ADC: BF04FF64 000000C0
	s_cbranch_scc0 label_0B8C                                  // 000000006AE4: BF84004D
	s_cmp_le_i32 s100, 64                                      // 000000006AE8: BF05C064
	s_cbranch_scc1 label_0B43                                  // 000000006AEC: BF850007
	s_cmp_le_i32 s100, 0x80                                    // 000000006AF0: BF05FF64 00000080
	s_cbranch_scc1 label_0B5B                                  // 000000006AF8: BF850017
	s_cmp_lt_i32 s100, 0xc0                                    // 000000006AFC: BF04FF64 000000C0
	s_cbranch_scc1 label_0B73                                  // 000000006B04: BF85002C
	s_branch label_0B8C                                        // 000000006B08: BF820044

0000000000006b0c <label_0B43>:
	s_mov_b32 s60, 0                                           // 000000006B0C: BEBC0080
	v_and_b32_e32 v28, 15, v0                                  // 000000006B10: 2638008F
	v_add_u32_e64 v28, v28, s60                                // 000000006B14: D134001C 0000791C
	v_mul_i32_i24_e64 v29, s46, 16                             // 000000006B1C: D106001D 0001202E
	v_add_u32_e32 v28, v28, v29                                // 000000006B24: 68383B1C
	v_cmp_lt_u32_e64 s[60:61], v28, s100                       // 000000006B28: D0C9003C 0000C91C
	s_nop 1                                                    // 000000006B30: BF800001
	v_cndmask_b32_e64 v48, v151, v48, s[60:61]                 // 000000006B34: D1000030 00F26197
	v_cndmask_b32_e64 v49, v151, v49, s[60:61]                 // 000000006B3C: D1000031 00F26397
	v_cndmask_b32_e64 v50, v151, v50, s[60:61]                 // 000000006B44: D1000032 00F26597
	v_cndmask_b32_e64 v51, v151, v51, s[60:61]                 // 000000006B4C: D1000033 00F26797
	s_branch label_0B6E                                        // 000000006B54: BF820013

0000000000006b58 <label_0B5B>:
	s_mov_b32 s60, 64                                          // 000000006B58: BEBC00C0
	v_and_b32_e32 v28, 15, v0                                  // 000000006B5C: 2638008F
	v_add_u32_e64 v28, v28, s60                                // 000000006B60: D134001C 0000791C
	v_mul_i32_i24_e64 v29, s46, 16                             // 000000006B68: D106001D 0001202E
	v_add_u32_e32 v28, v28, v29                                // 000000006B70: 68383B1C
	v_cmp_lt_u32_e64 s[60:61], v28, s100                       // 000000006B74: D0C9003C 0000C91C
	s_nop 1                                                    // 000000006B7C: BF800001
	v_cndmask_b32_e64 v52, v151, v52, s[60:61]                 // 000000006B80: D1000034 00F26997
	v_cndmask_b32_e64 v53, v151, v53, s[60:61]                 // 000000006B88: D1000035 00F26B97
	v_cndmask_b32_e64 v54, v151, v54, s[60:61]                 // 000000006B90: D1000036 00F26D97
	v_cndmask_b32_e64 v55, v151, v55, s[60:61]                 // 000000006B98: D1000037 00F26F97
	s_branch label_0B87                                        // 000000006BA0: BF820019

0000000000006ba4 <label_0B6E>:
	v_mov_b32_e32 v52, v151                                    // 000000006BA4: 7E680397
	v_mov_b32_e32 v53, v151                                    // 000000006BA8: 7E6A0397
	v_mov_b32_e32 v54, v151                                    // 000000006BAC: 7E6C0397
	v_mov_b32_e32 v55, v151                                    // 000000006BB0: 7E6E0397
	s_branch label_0B87                                        // 000000006BB4: BF820014

0000000000006bb8 <label_0B73>:
	s_mov_b32 s60, 0x80                                        // 000000006BB8: BEBC00FF 00000080
	v_and_b32_e32 v28, 15, v0                                  // 000000006BC0: 2638008F
	v_add_u32_e64 v28, v28, s60                                // 000000006BC4: D134001C 0000791C
	v_mul_i32_i24_e64 v29, s46, 16                             // 000000006BCC: D106001D 0001202E
	v_add_u32_e32 v28, v28, v29                                // 000000006BD4: 68383B1C
	v_cmp_lt_u32_e64 s[60:61], v28, s100                       // 000000006BD8: D0C9003C 0000C91C
	s_nop 1                                                    // 000000006BE0: BF800001
	v_cndmask_b32_e64 v56, v151, v56, s[60:61]                 // 000000006BE4: D1000038 00F27197
	v_cndmask_b32_e64 v57, v151, v57, s[60:61]                 // 000000006BEC: D1000039 00F27397
	v_cndmask_b32_e64 v58, v151, v58, s[60:61]                 // 000000006BF4: D100003A 00F27597
	v_cndmask_b32_e64 v59, v151, v59, s[60:61]                 // 000000006BFC: D100003B 00F27797
	s_branch label_0B8C                                        // 000000006C04: BF820005

0000000000006c08 <label_0B87>:
	v_mov_b32_e32 v56, v151                                    // 000000006C08: 7E700397
	v_mov_b32_e32 v57, v151                                    // 000000006C0C: 7E720397
	v_mov_b32_e32 v58, v151                                    // 000000006C10: 7E740397
	v_mov_b32_e32 v59, v151                                    // 000000006C14: 7E760397
	s_branch label_0B8C                                        // 000000006C18: BF820000

0000000000006c1c <label_0B8C>:
	s_addk_i32 s74, 0x1                                        // 000000006C1C: B74A0001
	s_waitcnt lgkmcnt(8)                                       // 000000006C20: BF8CC87F
	s_barrier                                                  // 000000006C24: BF8A0000
	v_mfma_f32_16x16x16_f16 v[72:75], v[92:93], a[96:97], 0    // 000000006C28: D3CD0048 1202C15C
	ds_read_b128 a[144:147], v12 offset:4352                   // 000000006C30: DBFE1100 9000000C
	ds_read_b128 a[148:151], v12 offset:4864                   // 000000006C38: DBFE1300 9400000C
	v_mfma_f32_16x16x16_f16 v[72:75], v[94:95], a[98:99], v[72:75]// 000000006C40: D3CD0048 1522C55E
	v_fma_f32 v48, v48, s57, -v124                             // 000000006C48: D1CB0030 85F07330
	v_fma_f32 v49, v49, s57, -v125                             // 000000006C50: D1CB0031 85F47331
	v_fma_f32 v50, v50, s57, -v126                             // 000000006C58: D1CB0032 85F87332
	v_mfma_f32_16x16x16_f16 v[72:75], v[96:97], a[100:101], v[72:75]// 000000006C60: D3CD0048 1522C960
	v_fma_f32 v51, v51, s57, -v127                             // 000000006C68: D1CB0033 85FC7333
	v_fma_f32 v52, v52, s57, -v124                             // 000000006C70: D1CB0034 85F07334
	v_fma_f32 v53, v53, s57, -v125                             // 000000006C78: D1CB0035 85F47335
	v_mfma_f32_16x16x16_f16 v[72:75], v[98:99], a[102:103], v[72:75]// 000000006C80: D3CD0048 1522CD62
	v_fma_f32 v54, v54, s57, -v126                             // 000000006C88: D1CB0036 85F87336
	v_fma_f32 v55, v55, s57, -v127                             // 000000006C90: D1CB0037 85FC7337
	v_fma_f32 v56, v56, s57, -v124                             // 000000006C98: D1CB0038 85F07338
	v_mfma_f32_16x16x16_f16 v[72:75], v[100:101], a[104:105], v[72:75]// 000000006CA0: D3CD0048 1522D164
	ds_read_b128 a[152:155], v12 offset:6528                   // 000000006CA8: DBFE1980 9800000C
	ds_read_b128 a[156:159], v12 offset:7040                   // 000000006CB0: DBFE1B80 9C00000C
	v_mfma_f32_16x16x16_f16 v[72:75], v[102:103], a[106:107], v[72:75]// 000000006CB8: D3CD0048 1522D566
	v_fma_f32 v57, v57, s57, -v125                             // 000000006CC0: D1CB0039 85F47339
	v_fma_f32 v58, v58, s57, -v126                             // 000000006CC8: D1CB003A 85F8733A
	v_fma_f32 v59, v59, s57, -v127                             // 000000006CD0: D1CB003B 85FC733B
	v_mfma_f32_16x16x16_f16 v[72:75], v[104:105], a[108:109], v[72:75]// 000000006CD8: D3CD0048 1522D968
	v_exp_f32_e32 v48, v48                                     // 000000006CE0: 7E604130
	v_mfma_f32_16x16x16_f16 v[72:75], v[106:107], a[110:111], v[72:75]// 000000006CE4: D3CD0048 1522DD6A
	v_exp_f32_e32 v49, v49                                     // 000000006CEC: 7E624131
	v_mfma_f32_16x16x16_f16 v[76:79], v[92:93], a[112:113], 0  // 000000006CF0: D3CD004C 1202E15C
	ds_read_b64 v[136:137], v19 offset:24320                   // 000000006CF8: D8EC5F00 88000013
	ds_read_b64 v[138:139], v19 offset:26368                   // 000000006D00: D8EC6700 8A000013
	v_mfma_f32_16x16x16_f16 v[76:79], v[94:95], a[114:115], v[76:79]// 000000006D08: D3CD004C 1532E55E
	v_exp_f32_e32 v50, v50                                     // 000000006D10: 7E644132
	v_mfma_f32_16x16x16_f16 v[76:79], v[96:97], a[116:117], v[76:79]// 000000006D14: D3CD004C 1532E960
	ds_read_b64 v[140:141], v19 offset:28416                   // 000000006D1C: D8EC6F00 8C000013
	ds_read_b64 v[142:143], v19 offset:30464                   // 000000006D24: D8EC7700 8E000013
	v_mfma_f32_16x16x16_f16 v[76:79], v[98:99], a[118:119], v[76:79]// 000000006D2C: D3CD004C 1532ED62
	v_exp_f32_e32 v51, v51                                     // 000000006D34: 7E664133
	v_mfma_f32_16x16x16_f16 v[76:79], v[100:101], a[120:121], v[76:79]// 000000006D38: D3CD004C 1532F164
	v_exp_f32_e32 v52, v52                                     // 000000006D40: 7E684134
	v_mfma_f32_16x16x16_f16 v[76:79], v[102:103], a[122:123], v[76:79]// 000000006D44: D3CD004C 1532F566
	v_exp_f32_e32 v53, v53                                     // 000000006D4C: 7E6A4135
	v_mfma_f32_16x16x16_f16 v[76:79], v[104:105], a[124:125], v[76:79]// 000000006D50: D3CD004C 1532F968
	v_exp_f32_e32 v54, v54                                     // 000000006D58: 7E6C4136
	v_mfma_f32_16x16x16_f16 v[76:79], v[106:107], a[126:127], v[76:79]// 000000006D5C: D3CD004C 1532FD6A
	v_exp_f32_e32 v55, v55                                     // 000000006D64: 7E6E4137
	v_mfma_f32_16x16x16_f16 v[80:83], v[92:93], a[128:129], 0  // 000000006D68: D3CD0050 1203015C
	v_exp_f32_e32 v56, v56                                     // 000000006D70: 7E704138
	v_mfma_f32_16x16x16_f16 v[80:83], v[94:95], a[130:131], v[80:83]// 000000006D74: D3CD0050 1543055E
	v_exp_f32_e32 v57, v57                                     // 000000006D7C: 7E724139
	v_mfma_f32_16x16x16_f16 v[80:83], v[96:97], a[132:133], v[80:83]// 000000006D80: D3CD0050 15430960
	v_exp_f32_e32 v58, v58                                     // 000000006D88: 7E74413A
	v_mfma_f32_16x16x16_f16 v[80:83], v[98:99], a[134:135], v[80:83]// 000000006D8C: D3CD0050 15430D62
	v_exp_f32_e32 v59, v59                                     // 000000006D94: 7E76413B
	v_mfma_f32_16x16x16_f16 v[80:83], v[100:101], a[136:137], v[80:83]// 000000006D98: D3CD0050 15431164
	v_cvt_pkrtz_f16_f32 v144, v48, v49                         // 000000006DA0: D2960090 00026330
	v_cvt_pkrtz_f16_f32 v145, v50, v51                         // 000000006DA8: D2960091 00026732
	v_cvt_pkrtz_f16_f32 v146, v52, v53                         // 000000006DB0: D2960092 00026B34
	v_mfma_f32_16x16x16_f16 v[80:83], v[102:103], a[138:139], v[80:83]// 000000006DB8: D3CD0050 15431566
	v_cvt_pkrtz_f16_f32 v147, v54, v55                         // 000000006DC0: D2960093 00026F36
	v_cvt_pkrtz_f16_f32 v148, v56, v57                         // 000000006DC8: D2960094 00027338
	v_cvt_pkrtz_f16_f32 v149, v58, v59                         // 000000006DD0: D2960095 0002773A
	v_mfma_f32_16x16x16_f16 v[80:83], v[104:105], a[140:141], v[80:83]// 000000006DD8: D3CD0050 15431968
	v_add_u32_e32 v7, s66, v7                                  // 000000006DE0: 680E0E42
	v_add_u32_e32 v8, s66, v8                                  // 000000006DE4: 68101042
	v_mfma_f32_16x16x16_f16 v[80:83], v[106:107], a[142:143], v[80:83]// 000000006DE8: D3CD0050 15431D6A
	s_waitcnt lgkmcnt(0)                                       // 000000006DF0: BF8CC07F
	s_barrier                                                  // 000000006DF4: BF8A0000
	v_mfma_f32_16x16x16_f16 v[152:155], v[108:109], v[144:145], v[152:155]// 000000006DF8: D3CD0098 0663216C
	v_subrev_f32_dpp v72, v150, v72 quad_perm:[0,0,0,0] row_mask:0xf bank_mask:0xf// 000000006E00: 069090FA FF000096
	v_subrev_f32_dpp v73, v150, v73 quad_perm:[1,1,1,1] row_mask:0xf bank_mask:0xf// 000000006E08: 069292FA FF005596
	v_subrev_f32_dpp v74, v150, v74 quad_perm:[2,2,2,2] row_mask:0xf bank_mask:0xf// 000000006E10: 069494FA FF00AA96
	v_mfma_f32_16x16x16_f16 v[156:159], v[110:111], v[144:145], v[156:159]// 000000006E18: D3CD009C 0673216E
	v_subrev_f32_dpp v75, v150, v75 quad_perm:[3,3,3,3] row_mask:0xf bank_mask:0xf// 000000006E20: 069696FA FF00FF96
	v_subrev_f32_dpp v76, v150, v76 quad_perm:[0,0,0,0] row_mask:0xf bank_mask:0xf// 000000006E28: 069898FA FF000096
	v_subrev_f32_dpp v77, v150, v77 quad_perm:[1,1,1,1] row_mask:0xf bank_mask:0xf// 000000006E30: 069A9AFA FF005596
	v_mfma_f32_16x16x16_f16 v[160:163], v[112:113], v[144:145], v[160:163]// 000000006E38: D3CD00A0 06832170
	v_mul_f32_e32 v72, v48, v72                                // 000000006E40: 0A909130
	v_mul_f32_e32 v73, v49, v73                                // 000000006E44: 0A929331
	v_mul_f32_e32 v74, v50, v74                                // 000000006E48: 0A949532
	v_mfma_f32_16x16x16_f16 v[164:167], v[114:115], v[144:145], v[164:167]// 000000006E4C: D3CD00A4 06932172
	v_mul_f32_e32 v75, v51, v75                                // 000000006E54: 0A969733
	v_mul_f32_e32 v76, v52, v76                                // 000000006E58: 0A989934
	v_mul_f32_e32 v77, v53, v77                                // 000000006E5C: 0A9A9B35
	v_mfma_f32_16x16x16_f16 v[168:171], v[116:117], v[144:145], v[168:171]// 000000006E60: D3CD00A8 06A32174
	v_cvt_pkrtz_f16_f32 v72, v72, v73                          // 000000006E68: D2960048 00029348
	v_cvt_pkrtz_f16_f32 v73, v74, v75                          // 000000006E70: D2960049 0002974A
	v_cvt_pkrtz_f16_f32 v74, v76, v77                          // 000000006E78: D296004A 00029B4C
	v_mfma_f32_16x16x16_f16 v[172:175], v[118:119], v[144:145], v[172:175]// 000000006E80: D3CD00AC 06B32176
	v_mov_b32_dpp v16, v72 quad_perm:[1,0,3,2] row_mask:0xf bank_mask:0xf// 000000006E88: 7E2002FA FF00B148
	v_perm_b32 v48, v16, v72, v15                              // 000000006E90: D1ED0030 043E9110
	v_mov_b32_dpp v16, v73 quad_perm:[1,0,3,2] row_mask:0xf bank_mask:0xf// 000000006E98: 7E2002FA FF00B149
	v_mfma_f32_16x16x16_f16 v[176:179], v[120:121], v[144:145], v[176:179]// 000000006EA0: D3CD00B0 06C32178
	v_perm_b32 v49, v16, v73, v15                              // 000000006EA8: D1ED0031 043E9310
	v_mov_b32_dpp v16, v74 quad_perm:[1,0,3,2] row_mask:0xf bank_mask:0xf// 000000006EB0: 7E2002FA FF00B14A
	v_perm_b32 v50, v16, v74, v15                              // 000000006EB8: D1ED0032 043E9510
	v_mfma_f32_16x16x16_f16 v[180:183], v[122:123], v[144:145], v[180:183]// 000000006EC0: D3CD00B4 06D3217A
	ds_write_b32 v18, v48 offset:17408                         // 000000006EC8: D81A4400 00003012
	v_mfma_f32_16x16x16_f16 v[184:187], v[108:109], v[146:147], v[184:187]// 000000006ED0: D3CD00B8 06E3256C
	v_subrev_f32_dpp v78, v150, v78 quad_perm:[2,2,2,2] row_mask:0xf bank_mask:0xf// 000000006ED8: 069C9CFA FF00AA96
	v_subrev_f32_dpp v79, v150, v79 quad_perm:[3,3,3,3] row_mask:0xf bank_mask:0xf// 000000006EE0: 069E9EFA FF00FF96
	v_subrev_f32_dpp v80, v150, v80 quad_perm:[0,0,0,0] row_mask:0xf bank_mask:0xf// 000000006EE8: 06A0A0FA FF000096
	v_mfma_f32_16x16x16_f16 v[188:191], v[110:111], v[146:147], v[188:191]// 000000006EF0: D3CD00BC 06F3256E
	ds_write_b32 v18, v49 offset:17952                         // 000000006EF8: D81A4620 00003112
	v_mfma_f32_16x16x16_f16 v[192:195], v[112:113], v[146:147], v[192:195]// 000000006F00: D3CD00C0 07032570
	v_subrev_f32_dpp v81, v150, v81 quad_perm:[1,1,1,1] row_mask:0xf bank_mask:0xf// 000000006F08: 06A2A2FA FF005596
	v_subrev_f32_dpp v82, v150, v82 quad_perm:[2,2,2,2] row_mask:0xf bank_mask:0xf// 000000006F10: 06A4A4FA FF00AA96
	v_subrev_f32_dpp v83, v150, v83 quad_perm:[3,3,3,3] row_mask:0xf bank_mask:0xf// 000000006F18: 06A6A6FA FF00FF96
	v_mfma_f32_16x16x16_f16 v[196:199], v[114:115], v[146:147], v[196:199]// 000000006F20: D3CD00C4 07132572
	ds_write_b32 v18, v50 offset:19712                         // 000000006F28: D81A4D00 00003212
	v_mfma_f32_16x16x16_f16 v[200:203], v[116:117], v[146:147], v[200:203]// 000000006F30: D3CD00C8 07232574
	v_mul_f32_e32 v78, v54, v78                                // 000000006F38: 0A9C9D36
	v_mul_f32_e32 v79, v55, v79                                // 000000006F3C: 0A9E9F37
	v_mul_f32_e32 v80, v56, v80                                // 000000006F40: 0AA0A138
	v_mfma_f32_16x16x16_f16 v[204:207], v[118:119], v[146:147], v[204:207]// 000000006F44: D3CD00CC 07332576
	v_mul_f32_e32 v81, v57, v81                                // 000000006F4C: 0AA2A339
	v_mul_f32_e32 v82, v58, v82                                // 000000006F50: 0AA4A53A
	v_mul_f32_e32 v83, v59, v83                                // 000000006F54: 0AA6A73B
	v_mfma_f32_16x16x16_f16 v[208:211], v[120:121], v[146:147], v[208:211]// 000000006F58: D3CD00D0 07432578
	v_cvt_pkrtz_f16_f32 v75, v78, v79                          // 000000006F60: D296004B 00029F4E
	v_cvt_pkrtz_f16_f32 v76, v80, v81                          // 000000006F68: D296004C 0002A350
	v_cvt_pkrtz_f16_f32 v77, v82, v83                          // 000000006F70: D296004D 0002A752
	v_mfma_f32_16x16x16_f16 v[212:215], v[122:123], v[146:147], v[212:215]// 000000006F78: D3CD00D4 0753257A
	v_mov_b32_dpp v16, v75 quad_perm:[1,0,3,2] row_mask:0xf bank_mask:0xf// 000000006F80: 7E2002FA FF00B14B
	v_perm_b32 v51, v16, v75, v15                              // 000000006F88: D1ED0033 043E9710
	v_mov_b32_dpp v16, v76 quad_perm:[1,0,3,2] row_mask:0xf bank_mask:0xf// 000000006F90: 7E2002FA FF00B14C
	v_mfma_f32_16x16x16_f16 v[216:219], v[108:109], v[148:149], v[216:219]// 000000006F98: D3CD00D8 0763296C
	v_perm_b32 v52, v16, v76, v15                              // 000000006FA0: D1ED0034 043E9910
	v_mov_b32_dpp v16, v77 quad_perm:[1,0,3,2] row_mask:0xf bank_mask:0xf// 000000006FA8: 7E2002FA FF00B14D
	v_perm_b32 v53, v16, v77, v15                              // 000000006FB0: D1ED0035 043E9B10
	v_mfma_f32_16x16x16_f16 v[220:223], v[110:111], v[148:149], v[220:223]// 000000006FB8: D3CD00DC 0773296E
	ds_write_b32 v18, v51 offset:20256                         // 000000006FC0: D81A4F20 00003312
	v_mfma_f32_16x16x16_f16 v[224:227], v[112:113], v[148:149], v[224:227]// 000000006FC8: D3CD00E0 07832970
	v_mfma_f32_16x16x16_f16 v[228:231], v[114:115], v[148:149], v[228:231]// 000000006FD0: D3CD00E4 07932972
	ds_write_b32 v18, v52 offset:22016                         // 000000006FD8: D81A5600 00003412
	ds_write_b32 v18, v53 offset:22560                         // 000000006FE0: D81A5820 00003512
	v_mfma_f32_16x16x16_f16 v[232:235], v[116:117], v[148:149], v[232:235]// 000000006FE8: D3CD00E8 07A32974
	v_mfma_f32_16x16x16_f16 v[236:239], v[118:119], v[148:149], v[236:239]// 000000006FF0: D3CD00EC 07B32976
	ds_write_b32 v13, v84 offset:4352                          // 000000006FF8: D81A1100 0000540D
	ds_write_b32 v13, v85 offset:5408                          // 000000007000: D81A1520 0000550D
	v_mfma_f32_16x16x16_f16 v[240:243], v[120:121], v[148:149], v[240:243]// 000000007008: D3CD00F0 07C32978
	s_nop 0                                                    // 000000007010: BF800000
	s_nop 0                                                    // 000000007014: BF800000
	;; [unrolled: 1-line block ×3, first 2 shown]
	v_mfma_f32_16x16x16_f16 v[244:247], v[122:123], v[148:149], v[244:247]// 00000000701C: D3CD00F4 07D3297A
	ds_write_b32 v13, v86 offset:4480                          // 000000007024: D81A1180 0000560D
	ds_write_b32 v13, v87 offset:5536                          // 00000000702C: D81A15A0 0000570D
	s_barrier                                                  // 000000007034: BF8A0000
	v_mfma_f32_16x16x16_f16 a[160:163], a[144:145], v[72:73], a[160:163]// 000000007038: D3CD80A0 0E829190
	buffer_atomic_add_f32 v136, v7, s[32:35], 0 offen          // 000000007040: E1341000 80088807
	v_mfma_f32_16x16x16_f16 a[164:167], a[146:147], v[72:73], a[164:167]// 000000007048: D3CD80A4 0E929192
	ds_read_b32 v124, v21 offset:51200                         // 000000007050: D86CC800 7C000015
	ds_read_b32 v150, v21 offset:51456                         // 000000007058: D86CC900 96000015
	v_mfma_f32_16x16x16_f16 a[168:171], a[148:149], v[72:73], a[168:171]// 000000007060: D3CD80A8 0EA29194
	s_waitcnt lgkmcnt(6)                                       // 000000007068: BF8CC67F
	s_barrier                                                  // 00000000706C: BF8A0000
	v_mfma_f32_16x16x16_f16 a[172:175], a[150:151], v[72:73], a[172:175]// 000000007070: D3CD80AC 0EB29196
	ds_read_b128 v[48:51], v17 offset:17408                    // 000000007078: D9FE4400 30000011
	v_mfma_f32_16x16x16_f16 a[176:179], a[152:153], v[72:73], a[176:179]// 000000007080: D3CD80B0 0EC29198
	v_mfma_f32_16x16x16_f16 a[180:183], a[154:155], v[72:73], a[180:183]// 000000007088: D3CD80B4 0ED2919A
	ds_read_b128 v[52:55], v17 offset:18560                    // 000000007090: D9FE4880 34000011
	v_mfma_f32_16x16x16_f16 a[184:187], a[156:157], v[72:73], a[184:187]// 000000007098: D3CD80B8 0EE2919C
	buffer_atomic_add_f32 v137, v8, s[32:35], 0 offen          // 0000000070A0: E1341000 80088908
	v_mfma_f32_16x16x16_f16 a[188:191], a[158:159], v[72:73], a[188:191]// 0000000070A8: D3CD80BC 0EF2919E
	ds_read_b128 v[56:59], v17 offset:19712                    // 0000000070B0: D9FE4D00 38000011
	v_mfma_f32_16x16x16_f16 a[192:195], a[144:145], v[74:75], a[192:195]// 0000000070B8: D3CD80C0 0F029590
	v_mfma_f32_16x16x16_f16 a[196:199], a[146:147], v[74:75], a[196:199]// 0000000070C0: D3CD80C4 0F129592
	ds_read_b128 v[60:63], v17 offset:20864                    // 0000000070C8: D9FE5180 3C000011
	v_mfma_f32_16x16x16_f16 a[200:203], a[148:149], v[74:75], a[200:203]// 0000000070D0: D3CD80C8 0F229594
	v_mfma_f32_16x16x16_f16 a[204:207], a[150:151], v[74:75], a[204:207]// 0000000070D8: D3CD80CC 0F329596
	ds_read_b128 v[64:67], v17 offset:22016                    // 0000000070E0: D9FE5600 40000011
	v_mfma_f32_16x16x16_f16 a[208:211], a[152:153], v[74:75], a[208:211]// 0000000070E8: D3CD80D0 0F429598
	buffer_atomic_add_f32 v138, v7, s[32:35], 0 offen offset:128// 0000000070F0: E1341080 80088A07
	v_mfma_f32_16x16x16_f16 a[212:215], a[154:155], v[74:75], a[212:215]// 0000000070F8: D3CD80D4 0F52959A
	ds_read_b128 v[68:71], v17 offset:23168                    // 000000007100: D9FE5A80 44000011
	v_mfma_f32_16x16x16_f16 a[216:219], a[156:157], v[74:75], a[216:219]// 000000007108: D3CD80D8 0F62959C
	v_mfma_f32_16x16x16_f16 a[220:223], a[158:159], v[74:75], a[220:223]// 000000007110: D3CD80DC 0F72959E
	ds_write_b32 v13, v88 offset:13056                         // 000000007118: D81A3300 0000580D
	v_mfma_f32_16x16x16_f16 a[224:227], a[144:145], v[76:77], a[224:227]// 000000007120: D3CD80E0 0F829990
	v_mfma_f32_16x16x16_f16 a[228:231], a[146:147], v[76:77], a[228:231]// 000000007128: D3CD80E4 0F929992
	ds_write_b32 v13, v89 offset:14112                         // 000000007130: D81A3720 0000590D
	v_mfma_f32_16x16x16_f16 a[232:235], a[148:149], v[76:77], a[232:235]// 000000007138: D3CD80E8 0FA29994
	buffer_atomic_add_f32 v139, v8, s[32:35], 0 offen offset:128// 000000007140: E1341080 80088B08
	v_mfma_f32_16x16x16_f16 a[236:239], a[150:151], v[76:77], a[236:239]// 000000007148: D3CD80EC 0FB29996
	ds_write_b32 v13, v90 offset:13184                         // 000000007150: D81A3380 00005A0D
	v_mfma_f32_16x16x16_f16 a[240:243], a[152:153], v[76:77], a[240:243]// 000000007158: D3CD80F0 0FC29998
	v_mfma_f32_16x16x16_f16 a[244:247], a[154:155], v[76:77], a[244:247]// 000000007160: D3CD80F4 0FD2999A
	ds_write_b32 v13, v91 offset:14240                         // 000000007168: D81A37A0 00005B0D
	v_mfma_f32_16x16x16_f16 a[248:251], a[156:157], v[76:77], a[248:251]// 000000007170: D3CD80F8 0FE2999C
	v_mfma_f32_16x16x16_f16 a[252:255], a[158:159], v[76:77], a[252:255]// 000000007178: D3CD80FC 0FF2999E
	s_waitcnt vmcnt(8) lgkmcnt(4)                              // 000000007180: BF8C0478
	s_barrier                                                  // 000000007184: BF8A0000
	v_mfma_f32_16x16x16_f16 v[128:131], v[48:49], a[48:49], 0  // 000000007188: D3CD0080 12026130
	v_mul_f32_e32 v124, s48, v124                              // 000000007190: 0AF8F830
	s_nop 0                                                    // 000000007194: BF800000
	v_mfma_f32_16x16x16_f16 v[128:131], v[50:51], a[52:53], v[128:131]// 000000007198: D3CD0080 16026932
	ds_read_b128 a[144:147], v10                               // 0000000071A0: DBFE0000 9000000A
	v_mov_b32_e32 v36, 0                                       // 0000000071A8: 7E480280
	s_mov_b64 exec, s[88:89]                                   // 0000000071AC: BEFE0158
	buffer_load_dword v36, v1, s[8:11], 0 idxen                // 0000000071B0: E0502000 80022401
	s_mov_b32 exec_lo, -1                                      // 0000000071B8: BEFE00C1
	s_mov_b32 exec_hi, -1                                      // 0000000071BC: BEFF00C1
	v_mfma_f32_16x16x16_f16 v[128:131], v[52:53], a[56:57], v[128:131]// 0000000071C0: D3CD0080 16027134
	v_mfma_f32_16x16x16_f16 v[128:131], v[54:55], a[60:61], v[128:131]// 0000000071C8: D3CD0080 16027936
	ds_read_b128 a[148:151], v10 offset:512                    // 0000000071D0: DBFE0200 9400000A
	v_mov_b32_e32 v37, 0                                       // 0000000071D8: 7E4A0280
	s_mov_b64 exec, s[88:89]                                   // 0000000071DC: BEFE0158
	buffer_load_dword v37, v2, s[8:11], 0 idxen                // 0000000071E0: E0502000 80022502
	s_mov_b32 exec_lo, -1                                      // 0000000071E8: BEFE00C1
	s_mov_b32 exec_hi, -1                                      // 0000000071EC: BEFF00C1
	v_mfma_f32_16x16x16_f16 v[128:131], v[56:57], a[64:65], v[128:131]// 0000000071F0: D3CD0080 16028138
	v_perm_b32 v84, v33, v32, s63                              // 0000000071F8: D1ED0054 00FE4121
	v_perm_b32 v85, v33, v32, s64                              // 000000007200: D1ED0055 01024121
	v_mfma_f32_16x16x16_f16 v[128:131], v[58:59], a[68:69], v[128:131]// 000000007208: D3CD0080 1602893A
	ds_read_b128 a[152:155], v10 offset:2176                   // 000000007210: DBFE0880 9800000A
	v_mov_b32_e32 v38, 0                                       // 000000007218: 7E4C0280
	s_mov_b64 exec, s[88:89]                                   // 00000000721C: BEFE0158
	buffer_load_dword v38, v3, s[8:11], 0 idxen                // 000000007220: E0502000 80022603
	s_mov_b32 exec_lo, -1                                      // 000000007228: BEFE00C1
	s_mov_b32 exec_hi, -1                                      // 00000000722C: BEFF00C1
	v_mfma_f32_16x16x16_f16 v[128:131], v[60:61], a[72:73], v[128:131]// 000000007230: D3CD0080 1602913C
	v_perm_b32 v86, v35, v34, s63                              // 000000007238: D1ED0056 00FE4523
	v_perm_b32 v87, v35, v34, s64                              // 000000007240: D1ED0057 01024523
	v_mfma_f32_16x16x16_f16 v[128:131], v[62:63], a[76:77], v[128:131]// 000000007248: D3CD0080 1602993E
	ds_read_b128 a[156:159], v10 offset:2688                   // 000000007250: DBFE0A80 9C00000A
	v_mov_b32_e32 v39, 0                                       // 000000007258: 7E4E0280
	s_mov_b64 exec, s[88:89]                                   // 00000000725C: BEFE0158
	buffer_load_dword v39, v4, s[8:11], 0 idxen                // 000000007260: E0502000 80022704
	s_mov_b32 exec_lo, -1                                      // 000000007268: BEFE00C1
	s_mov_b32 exec_hi, -1                                      // 00000000726C: BEFF00C1
	v_mfma_f32_16x16x16_f16 v[128:131], v[64:65], a[80:81], v[128:131]// 000000007270: D3CD0080 1602A140
	v_perm_b32 v88, v41, v40, s63                              // 000000007278: D1ED0058 00FE5129
	v_perm_b32 v89, v41, v40, s64                              // 000000007280: D1ED0059 01025129
	v_mfma_f32_16x16x16_f16 v[128:131], v[66:67], a[84:85], v[128:131]// 000000007288: D3CD0080 1602A942
	ds_read_b128 v[92:95], v10 offset:8704                     // 000000007290: D9FE2200 5C00000A
	v_mov_b32_e32 v44, 0                                       // 000000007298: 7E580280
	s_mov_b64 exec, s[88:89]                                   // 00000000729C: BEFE0158
	buffer_load_dword v44, v248, s[20:23], 0 idxen             // 0000000072A0: E0502000 80052CF8
	s_mov_b32 exec_lo, -1                                      // 0000000072A8: BEFE00C1
	s_mov_b32 exec_hi, -1                                      // 0000000072AC: BEFF00C1
	v_mfma_f32_16x16x16_f16 v[128:131], v[68:69], a[88:89], v[128:131]// 0000000072B0: D3CD0080 1602B144
	v_perm_b32 v90, v43, v42, s63                              // 0000000072B8: D1ED005A 00FE552B
	v_perm_b32 v91, v43, v42, s64                              // 0000000072C0: D1ED005B 0102552B
	v_mfma_f32_16x16x16_f16 v[128:131], v[70:71], a[92:93], v[128:131]// 0000000072C8: D3CD0080 1602B946
	ds_read_b128 v[96:99], v10 offset:9216                     // 0000000072D0: D9FE2400 6000000A
	v_mov_b32_e32 v45, 0                                       // 0000000072D8: 7E5A0280
	s_mov_b64 exec, s[88:89]                                   // 0000000072DC: BEFE0158
	buffer_load_dword v45, v249, s[20:23], 0 idxen             // 0000000072E0: E0502000 80052DF9
	s_mov_b32 exec_lo, -1                                      // 0000000072E8: BEFE00C1
	s_mov_b32 exec_hi, -1                                      // 0000000072EC: BEFF00C1
	v_mfma_f32_16x16x16_f16 v[132:135], v[48:49], a[50:51], 0  // 0000000072F0: D3CD0084 12026530
	v_mov_b32_dpp v127, v124 quad_perm:[3,3,3,3] row_mask:0xf bank_mask:0xf// 0000000072F8: 7EFE02FA FF00FF7C
	v_mov_b32_dpp v126, v124 quad_perm:[2,2,2,2] row_mask:0xf bank_mask:0xf// 000000007300: 7EFC02FA FF00AA7C
	v_mfma_f32_16x16x16_f16 v[132:135], v[50:51], a[54:55], v[132:135]// 000000007308: D3CD0084 16126D32
	ds_read_b128 v[100:103], v10 offset:10880                  // 000000007310: D9FE2A80 6400000A
	v_mov_b32_e32 v46, 0                                       // 000000007318: 7E5C0280
	s_mov_b64 exec, s[88:89]                                   // 00000000731C: BEFE0158
	buffer_load_dword v46, v250, s[20:23], 0 idxen             // 000000007320: E0502000 80052EFA
	s_mov_b32 exec_lo, -1                                      // 000000007328: BEFE00C1
	s_mov_b32 exec_hi, -1                                      // 00000000732C: BEFF00C1
	v_mfma_f32_16x16x16_f16 v[132:135], v[52:53], a[58:59], v[132:135]// 000000007330: D3CD0084 16127534
	v_mov_b32_dpp v125, v124 quad_perm:[1,1,1,1] row_mask:0xf bank_mask:0xf// 000000007338: 7EFA02FA FF00557C
	v_mov_b32_dpp v124, v124 quad_perm:[0,0,0,0] row_mask:0xf bank_mask:0xf// 000000007340: 7EF802FA FF00007C
	s_add_u32 s60, 64, s59                                     // 000000007348: 803C3BC0
	v_mfma_f32_16x16x16_f16 v[132:135], v[54:55], a[62:63], v[132:135]// 00000000734C: D3CD0084 16127D36
	ds_read_b128 v[104:107], v10 offset:11392                  // 000000007354: D9FE2C80 6800000A
	v_mov_b32_e32 v47, 0                                       // 00000000735C: 7E5E0280
	s_mov_b64 exec, s[88:89]                                   // 000000007360: BEFE0158
	buffer_load_dword v47, v251, s[20:23], 0 idxen             // 000000007364: E0502000 80052FFB
	s_mov_b32 exec_lo, -1                                      // 00000000736C: BEFE00C1
	s_mov_b32 exec_hi, -1                                      // 000000007370: BEFF00C1
	v_mfma_f32_16x16x16_f16 v[132:135], v[56:57], a[66:67], v[132:135]// 000000007374: D3CD0084 16128538
	s_cmp_lt_u32 s60, s58                                      // 00000000737C: BF0A3A3C
	s_cselect_b32 s68, s68, 0                                  // 000000007380: 85448044
	s_cselect_b32 s99, s99, 0                                  // 000000007384: 85638063
	;; [unrolled: 1-line block ×3, first 2 shown]
	v_mfma_f32_16x16x16_f16 v[132:135], v[58:59], a[70:71], v[132:135]// 00000000738C: D3CD0084 16128D3A
	buffer_load_dword v9, s[24:27], 0 idxen lds                // 000000007394: E0512000 80060009
	v_mfma_f32_16x16x16_f16 v[132:135], v[60:61], a[74:75], v[132:135]// 00000000739C: D3CD0084 1612953C
	v_add_u32_e32 v1, s68, v1                                  // 0000000073A4: 68020244
	v_add_u32_e32 v2, s68, v2                                  // 0000000073A8: 68040444
	v_add_u32_e32 v3, s68, v3                                  // 0000000073AC: 68060644
	v_add_u32_e32 v4, s68, v4                                  // 0000000073B0: 68080844
	v_mfma_f32_16x16x16_f16 v[132:135], v[62:63], a[78:79], v[132:135]// 0000000073B4: D3CD0084 16129D3E
	v_add_u32_e32 v248, s99, v248                              // 0000000073BC: 69F1F063
	v_add_u32_e32 v249, s99, v249                              // 0000000073C0: 69F3F263
	v_add_u32_e32 v250, s99, v250                              // 0000000073C4: 69F5F463
	v_add_u32_e32 v251, s99, v251                              // 0000000073C8: 69F7F663
	v_mfma_f32_16x16x16_f16 v[132:135], v[64:65], a[82:83], v[132:135]// 0000000073CC: D3CD0084 1612A540
	s_mov_b32 m0, s78                                          // 0000000073D4: BEFC004E
	v_add_u32_e32 v9, s69, v9                                  // 0000000073D8: 68121245
	v_mfma_f32_16x16x16_f16 v[132:135], v[66:67], a[86:87], v[132:135]// 0000000073DC: D3CD0084 1612AD42
	s_cmp_ge_u32 s59, s73                                      // 0000000073E4: BF09493B
	s_cselect_b32 s66, s67, s66                                // 0000000073E8: 85424243
	v_mfma_f32_16x16x16_f16 v[132:135], v[68:69], a[90:91], v[132:135]// 0000000073EC: D3CD0084 1612B544
	s_addk_i32 s59, 0x10                                       // 0000000073F4: B73B0010
	s_nop 0                                                    // 0000000073F8: BF800000
	s_cmp_lt_i32 s59, s58                                      // 0000000073FC: BF043A3B
	v_mfma_f32_16x16x16_f16 v[132:135], v[70:71], a[94:95], v[132:135]// 000000007400: D3CD0084 1612BD46
	s_cbranch_scc0 label_10B3                                  // 000000007408: BF840326
	s_waitcnt lgkmcnt(0)                                       // 00000000740C: BF8CC07F
	s_barrier                                                  // 000000007410: BF8A0000
	v_mfma_f32_16x16x16_f16 v[48:51], a[144:145], a[0:1], 0    // 000000007414: D3CD0030 1A020190
	ds_write_b32 v11, v40 offset:8704                          // 00000000741C: D81A2200 0000280B
	ds_write_b32 v11, v41 offset:9760                          // 000000007424: D81A2620 0000290B
	v_mfma_f32_16x16x16_f16 v[48:51], a[146:147], a[2:3], v[48:51]// 00000000742C: D3CD0030 1CC20592
	v_mul_f32_e32 v128, s47, v128                              // 000000007434: 0B01002F
	v_mul_f32_e32 v129, s47, v129                              // 000000007438: 0B03022F
	v_mfma_f32_16x16x16_f16 v[48:51], a[148:149], a[4:5], v[48:51]// 00000000743C: D3CD0030 1CC20994
	ds_write_b32 v11, v42 offset:8832                          // 000000007444: D81A2280 00002A0B
	ds_write_b32 v11, v43 offset:9888                          // 00000000744C: D81A26A0 00002B0B
	v_mfma_f32_16x16x16_f16 v[48:51], a[150:151], a[6:7], v[48:51]// 000000007454: D3CD0030 1CC20D96
	v_mul_f32_e32 v130, s47, v130                              // 00000000745C: 0B05042F
	v_mul_f32_e32 v131, s47, v131                              // 000000007460: 0B07062F
	v_mfma_f32_16x16x16_f16 v[48:51], a[152:153], a[8:9], v[48:51]// 000000007464: D3CD0030 1CC21198
	ds_write_b64 v20, v[128:129] offset:24320                  // 00000000746C: D89A5F00 00008014
	v_mfma_f32_16x16x16_f16 v[48:51], a[154:155], a[10:11], v[48:51]// 000000007474: D3CD0030 1CC2159A
	v_mul_f32_e32 v132, s47, v132                              // 00000000747C: 0B09082F
	v_mul_f32_e32 v133, s47, v133                              // 000000007480: 0B0B0A2F
	v_mfma_f32_16x16x16_f16 v[48:51], a[156:157], a[12:13], v[48:51]// 000000007484: D3CD0030 1CC2199C
	ds_write_b64 v20, v[130:131] offset:24832                  // 00000000748C: D89A6100 00008214
	v_mfma_f32_16x16x16_f16 v[48:51], a[158:159], a[14:15], v[48:51]// 000000007494: D3CD0030 1CC21D9E
	v_mul_f32_e32 v134, s47, v134                              // 00000000749C: 0B0D0C2F
	v_mul_f32_e32 v135, s47, v135                              // 0000000074A0: 0B0F0E2F
	v_mfma_f32_16x16x16_f16 v[52:55], a[144:145], a[16:17], 0  // 0000000074A4: D3CD0034 1A022190
	ds_write_b64 v20, v[132:133] offset:25344                  // 0000000074AC: D89A6300 00008414
	v_mfma_f32_16x16x16_f16 v[52:55], a[146:147], a[18:19], v[52:55]// 0000000074B4: D3CD0034 1CD22592
	buffer_atomic_add_f32 v140, v7, s[32:35], 0 offen offset:256// 0000000074BC: E1341100 80088C07
	v_mfma_f32_16x16x16_f16 v[52:55], a[148:149], a[20:21], v[52:55]// 0000000074C4: D3CD0034 1CD22994
	ds_write_b64 v20, v[134:135] offset:25856                  // 0000000074CC: D89A6500 00008614
	v_mfma_f32_16x16x16_f16 v[52:55], a[150:151], a[22:23], v[52:55]// 0000000074D4: D3CD0034 1CD22D96
	v_mfma_f32_16x16x16_f16 v[52:55], a[152:153], a[24:25], v[52:55]// 0000000074DC: D3CD0034 1CD23198
	ds_read_b128 v[108:111], v12 offset:13056                  // 0000000074E4: D9FE3300 6C00000C
	ds_write_b32 v11, v32                                      // 0000000074EC: D81A0000 0000200B
	v_mfma_f32_16x16x16_f16 v[52:55], a[154:155], a[26:27], v[52:55]// 0000000074F4: D3CD0034 1CD2359A
	buffer_atomic_add_f32 v141, v8, s[32:35], 0 offen offset:256// 0000000074FC: E1341100 80088D08
	v_mfma_f32_16x16x16_f16 v[52:55], a[156:157], a[28:29], v[52:55]// 000000007504: D3CD0034 1CD2399C
	v_mfma_f32_16x16x16_f16 v[52:55], a[158:159], a[30:31], v[52:55]// 00000000750C: D3CD0034 1CD23D9E
	ds_read_b128 v[112:115], v12 offset:13568                  // 000000007514: D9FE3500 7000000C
	ds_write_b32 v11, v33 offset:1056                          // 00000000751C: D81A0420 0000210B
	v_mfma_f32_16x16x16_f16 v[56:59], a[144:145], a[32:33], 0  // 000000007524: D3CD0038 1A024190
	buffer_atomic_add_f32 v142, v7, s[32:35], 0 offen offset:384// 00000000752C: E1341180 80088E07
	v_mfma_f32_16x16x16_f16 v[56:59], a[146:147], a[34:35], v[56:59]// 000000007534: D3CD0038 1CE24592
	v_mfma_f32_16x16x16_f16 v[56:59], a[148:149], a[36:37], v[56:59]// 00000000753C: D3CD0038 1CE24994
	ds_read_b128 v[116:119], v12 offset:15232                  // 000000007544: D9FE3B80 7400000C
	ds_write_b32 v11, v34 offset:128                           // 00000000754C: D81A0080 0000220B
	v_mfma_f32_16x16x16_f16 v[56:59], a[150:151], a[38:39], v[56:59]// 000000007554: D3CD0038 1CE24D96
	v_mfma_f32_16x16x16_f16 v[56:59], a[152:153], a[40:41], v[56:59]// 00000000755C: D3CD0038 1CE25198
	buffer_atomic_add_f32 v143, v8, s[32:35], 0 offen offset:384// 000000007564: E1341180 80088F08
	v_mfma_f32_16x16x16_f16 v[56:59], a[154:155], a[42:43], v[56:59]// 00000000756C: D3CD0038 1CE2559A
	ds_read_b128 v[120:123], v12 offset:15744                  // 000000007574: D9FE3D80 7800000C
	ds_write_b32 v11, v35 offset:1184                          // 00000000757C: D81A04A0 0000230B
	v_mfma_f32_16x16x16_f16 v[56:59], a[156:157], a[44:45], v[56:59]// 000000007584: D3CD0038 1CE2599C
	v_mfma_f32_16x16x16_f16 v[56:59], a[158:159], a[46:47], v[56:59]// 00000000758C: D3CD0038 1CE25D9E
	s_cmp_lt_i32 s74, 12                                       // 000000007594: BF048C4A
	s_cbranch_scc0 label_0E61                                  // 000000007598: BF840075
	s_mov_b32 s60, 0xffe0fffe                                  // 00000000759C: BEBC00FF FFE0FFFE
	s_mov_b32 s61, 0xe000fe00                                  // 0000000075A4: BEBD00FF E000FE00
	s_nop 0                                                    // 0000000075AC: BF800000
	s_add_u32 s62, 0, s46                                      // 0000000075B0: 803E2E80
	s_cmp_lt_i32 s74, s62                                      // 0000000075B4: BF043E4A
	s_cbranch_scc1 label_0E1C                                  // 0000000075B8: BF850028
	s_cmp_eq_i32 s74, s62                                      // 0000000075BC: BF003E4A
	s_cbranch_scc1 label_0E01                                  // 0000000075C0: BF85000B
	s_add_u32 s62, 4, s46                                      // 0000000075C4: 803E2E84
	s_cmp_lt_i32 s74, s62                                      // 0000000075C8: BF043E4A
	s_cbranch_scc1 label_0E3C                                  // 0000000075CC: BF850043
	s_cmp_eq_i32 s74, s62                                      // 0000000075D0: BF003E4A
	s_cbranch_scc1 label_0E21                                  // 0000000075D4: BF850026
	s_add_u32 s62, 8, s46                                      // 0000000075D8: 803E2E88
	s_cmp_lt_i32 s74, s62                                      // 0000000075DC: BF043E4A
	s_cbranch_scc1 label_0E5C                                  // 0000000075E0: BF85005E
	s_cmp_eq_i32 s74, s62                                      // 0000000075E4: BF003E4A
	s_cbranch_scc1 label_0E41                                  // 0000000075E8: BF850041
	s_branch label_0E61                                        // 0000000075EC: BF820060

00000000000075f0 <label_0E01>:
	v_cndmask_b32_e64 v48, v48, v151, s[60:61]                 // 0000000075F0: D1000030 00F32F30
	s_lshl_b32 s60, s60, 1                                     // 0000000075F8: 8E3C813C
	s_lshl_b32 s61, s61, 1                                     // 0000000075FC: 8E3D813D
	s_and_b32 s60, 0xfffeffff, s60                             // 000000007600: 863C3CFF FFFEFFFF
	s_and_b32 s61, 0xfffeffff, s61                             // 000000007608: 863D3DFF FFFEFFFF
	v_cndmask_b32_e64 v49, v49, v151, s[60:61]                 // 000000007610: D1000031 00F32F31
	s_lshl_b32 s60, s60, 1                                     // 000000007618: 8E3C813C
	s_lshl_b32 s61, s61, 1                                     // 00000000761C: 8E3D813D
	s_and_b32 s60, 0xfffeffff, s60                             // 000000007620: 863C3CFF FFFEFFFF
	s_and_b32 s61, 0xfffeffff, s61                             // 000000007628: 863D3DFF FFFEFFFF
	v_cndmask_b32_e64 v50, v50, v151, s[60:61]                 // 000000007630: D1000032 00F32F32
	s_lshl_b32 s60, s60, 1                                     // 000000007638: 8E3C813C
	s_lshl_b32 s61, s61, 1                                     // 00000000763C: 8E3D813D
	s_and_b32 s60, 0xfffeffff, s60                             // 000000007640: 863C3CFF FFFEFFFF
	s_and_b32 s61, 0xfffeffff, s61                             // 000000007648: 863D3DFF FFFEFFFF
	v_cndmask_b32_e64 v51, v51, v151, s[60:61]                 // 000000007650: D1000033 00F32F33
	s_branch label_0E3C                                        // 000000007658: BF820020

000000000000765c <label_0E1C>:
	v_mov_b32_e32 v48, v151                                    // 00000000765C: 7E600397
	v_mov_b32_e32 v49, v151                                    // 000000007660: 7E620397
	v_mov_b32_e32 v50, v151                                    // 000000007664: 7E640397
	v_mov_b32_e32 v51, v151                                    // 000000007668: 7E660397
	s_branch label_0E3C                                        // 00000000766C: BF82001B

0000000000007670 <label_0E21>:
	v_cndmask_b32_e64 v52, v52, v151, s[60:61]                 // 000000007670: D1000034 00F32F34
	s_lshl_b32 s60, s60, 1                                     // 000000007678: 8E3C813C
	s_lshl_b32 s61, s61, 1                                     // 00000000767C: 8E3D813D
	s_and_b32 s60, 0xfffeffff, s60                             // 000000007680: 863C3CFF FFFEFFFF
	s_and_b32 s61, 0xfffeffff, s61                             // 000000007688: 863D3DFF FFFEFFFF
	v_cndmask_b32_e64 v53, v53, v151, s[60:61]                 // 000000007690: D1000035 00F32F35
	s_lshl_b32 s60, s60, 1                                     // 000000007698: 8E3C813C
	s_lshl_b32 s61, s61, 1                                     // 00000000769C: 8E3D813D
	s_and_b32 s60, 0xfffeffff, s60                             // 0000000076A0: 863C3CFF FFFEFFFF
	s_and_b32 s61, 0xfffeffff, s61                             // 0000000076A8: 863D3DFF FFFEFFFF
	v_cndmask_b32_e64 v54, v54, v151, s[60:61]                 // 0000000076B0: D1000036 00F32F36
	s_lshl_b32 s60, s60, 1                                     // 0000000076B8: 8E3C813C
	s_lshl_b32 s61, s61, 1                                     // 0000000076BC: 8E3D813D
	s_and_b32 s60, 0xfffeffff, s60                             // 0000000076C0: 863C3CFF FFFEFFFF
	s_and_b32 s61, 0xfffeffff, s61                             // 0000000076C8: 863D3DFF FFFEFFFF
	v_cndmask_b32_e64 v55, v55, v151, s[60:61]                 // 0000000076D0: D1000037 00F32F37
	s_branch label_0E5C                                        // 0000000076D8: BF820020

00000000000076dc <label_0E3C>:
	v_mov_b32_e32 v52, v151                                    // 0000000076DC: 7E680397
	v_mov_b32_e32 v53, v151                                    // 0000000076E0: 7E6A0397
	v_mov_b32_e32 v54, v151                                    // 0000000076E4: 7E6C0397
	v_mov_b32_e32 v55, v151                                    // 0000000076E8: 7E6E0397
	s_branch label_0E5C                                        // 0000000076EC: BF82001B

00000000000076f0 <label_0E41>:
	v_cndmask_b32_e64 v56, v56, v151, s[60:61]                 // 0000000076F0: D1000038 00F32F38
	s_lshl_b32 s60, s60, 1                                     // 0000000076F8: 8E3C813C
	s_lshl_b32 s61, s61, 1                                     // 0000000076FC: 8E3D813D
	s_and_b32 s60, 0xfffeffff, s60                             // 000000007700: 863C3CFF FFFEFFFF
	s_and_b32 s61, 0xfffeffff, s61                             // 000000007708: 863D3DFF FFFEFFFF
	v_cndmask_b32_e64 v57, v57, v151, s[60:61]                 // 000000007710: D1000039 00F32F39
	s_lshl_b32 s60, s60, 1                                     // 000000007718: 8E3C813C
	s_lshl_b32 s61, s61, 1                                     // 00000000771C: 8E3D813D
	s_and_b32 s60, 0xfffeffff, s60                             // 000000007720: 863C3CFF FFFEFFFF
	s_and_b32 s61, 0xfffeffff, s61                             // 000000007728: 863D3DFF FFFEFFFF
	v_cndmask_b32_e64 v58, v58, v151, s[60:61]                 // 000000007730: D100003A 00F32F3A
	s_lshl_b32 s60, s60, 1                                     // 000000007738: 8E3C813C
	s_lshl_b32 s61, s61, 1                                     // 00000000773C: 8E3D813D
	s_and_b32 s60, 0xfffeffff, s60                             // 000000007740: 863C3CFF FFFEFFFF
	s_and_b32 s61, 0xfffeffff, s61                             // 000000007748: 863D3DFF FFFEFFFF
	v_cndmask_b32_e64 v59, v59, v151, s[60:61]                 // 000000007750: D100003B 00F32F3B
	s_branch label_0E61                                        // 000000007758: BF820005

000000000000775c <label_0E5C>:
	v_mov_b32_e32 v56, v151                                    // 00000000775C: 7E700397
	v_mov_b32_e32 v57, v151                                    // 000000007760: 7E720397
	v_mov_b32_e32 v58, v151                                    // 000000007764: 7E740397
	v_mov_b32_e32 v59, v151                                    // 000000007768: 7E760397
	s_branch label_0E61                                        // 00000000776C: BF820000

0000000000007770 <label_0E61>:
	s_cmp_lt_i32 s100, 0xc0                                    // 000000007770: BF04FF64 000000C0
	s_cbranch_scc0 label_0EB6                                  // 000000007778: BF84004D
	s_cmp_le_i32 s100, 64                                      // 00000000777C: BF05C064
	s_cbranch_scc1 label_0E6D                                  // 000000007780: BF850007
	s_cmp_le_i32 s100, 0x80                                    // 000000007784: BF05FF64 00000080
	s_cbranch_scc1 label_0E85                                  // 00000000778C: BF850017
	s_cmp_lt_i32 s100, 0xc0                                    // 000000007790: BF04FF64 000000C0
	s_cbranch_scc1 label_0E9D                                  // 000000007798: BF85002C
	s_branch label_0EB6                                        // 00000000779C: BF820044

00000000000077a0 <label_0E6D>:
	s_mov_b32 s60, 0                                           // 0000000077A0: BEBC0080
	v_and_b32_e32 v28, 15, v0                                  // 0000000077A4: 2638008F
	v_add_u32_e64 v28, v28, s60                                // 0000000077A8: D134001C 0000791C
	v_mul_i32_i24_e64 v29, s46, 16                             // 0000000077B0: D106001D 0001202E
	v_add_u32_e32 v28, v28, v29                                // 0000000077B8: 68383B1C
	v_cmp_lt_u32_e64 s[60:61], v28, s100                       // 0000000077BC: D0C9003C 0000C91C
	s_nop 1                                                    // 0000000077C4: BF800001
	v_cndmask_b32_e64 v48, v151, v48, s[60:61]                 // 0000000077C8: D1000030 00F26197
	v_cndmask_b32_e64 v49, v151, v49, s[60:61]                 // 0000000077D0: D1000031 00F26397
	v_cndmask_b32_e64 v50, v151, v50, s[60:61]                 // 0000000077D8: D1000032 00F26597
	v_cndmask_b32_e64 v51, v151, v51, s[60:61]                 // 0000000077E0: D1000033 00F26797
	s_branch label_0E98                                        // 0000000077E8: BF820013

00000000000077ec <label_0E85>:
	s_mov_b32 s60, 64                                          // 0000000077EC: BEBC00C0
	v_and_b32_e32 v28, 15, v0                                  // 0000000077F0: 2638008F
	v_add_u32_e64 v28, v28, s60                                // 0000000077F4: D134001C 0000791C
	v_mul_i32_i24_e64 v29, s46, 16                             // 0000000077FC: D106001D 0001202E
	v_add_u32_e32 v28, v28, v29                                // 000000007804: 68383B1C
	v_cmp_lt_u32_e64 s[60:61], v28, s100                       // 000000007808: D0C9003C 0000C91C
	s_nop 1                                                    // 000000007810: BF800001
	v_cndmask_b32_e64 v52, v151, v52, s[60:61]                 // 000000007814: D1000034 00F26997
	v_cndmask_b32_e64 v53, v151, v53, s[60:61]                 // 00000000781C: D1000035 00F26B97
	v_cndmask_b32_e64 v54, v151, v54, s[60:61]                 // 000000007824: D1000036 00F26D97
	v_cndmask_b32_e64 v55, v151, v55, s[60:61]                 // 00000000782C: D1000037 00F26F97
	s_branch label_0EB1                                        // 000000007834: BF820019

0000000000007838 <label_0E98>:
	v_mov_b32_e32 v52, v151                                    // 000000007838: 7E680397
	v_mov_b32_e32 v53, v151                                    // 00000000783C: 7E6A0397
	v_mov_b32_e32 v54, v151                                    // 000000007840: 7E6C0397
	v_mov_b32_e32 v55, v151                                    // 000000007844: 7E6E0397
	s_branch label_0EB1                                        // 000000007848: BF820014

000000000000784c <label_0E9D>:
	s_mov_b32 s60, 0x80                                        // 00000000784C: BEBC00FF 00000080
	v_and_b32_e32 v28, 15, v0                                  // 000000007854: 2638008F
	v_add_u32_e64 v28, v28, s60                                // 000000007858: D134001C 0000791C
	v_mul_i32_i24_e64 v29, s46, 16                             // 000000007860: D106001D 0001202E
	v_add_u32_e32 v28, v28, v29                                // 000000007868: 68383B1C
	v_cmp_lt_u32_e64 s[60:61], v28, s100                       // 00000000786C: D0C9003C 0000C91C
	s_nop 1                                                    // 000000007874: BF800001
	v_cndmask_b32_e64 v56, v151, v56, s[60:61]                 // 000000007878: D1000038 00F27197
	v_cndmask_b32_e64 v57, v151, v57, s[60:61]                 // 000000007880: D1000039 00F27397
	v_cndmask_b32_e64 v58, v151, v58, s[60:61]                 // 000000007888: D100003A 00F27597
	v_cndmask_b32_e64 v59, v151, v59, s[60:61]                 // 000000007890: D100003B 00F27797
	s_branch label_0EB6                                        // 000000007898: BF820005

000000000000789c <label_0EB1>:
	v_mov_b32_e32 v56, v151                                    // 00000000789C: 7E700397
	v_mov_b32_e32 v57, v151                                    // 0000000078A0: 7E720397
	v_mov_b32_e32 v58, v151                                    // 0000000078A4: 7E740397
	v_mov_b32_e32 v59, v151                                    // 0000000078A8: 7E760397
	s_branch label_0EB6                                        // 0000000078AC: BF820000

00000000000078b0 <label_0EB6>:
	s_addk_i32 s74, 0x1                                        // 0000000078B0: B74A0001
	s_waitcnt lgkmcnt(8)                                       // 0000000078B4: BF8CC87F
	s_barrier                                                  // 0000000078B8: BF8A0000
	v_mfma_f32_16x16x16_f16 v[72:75], v[92:93], a[96:97], 0    // 0000000078BC: D3CD0048 1202C15C
	ds_read_b128 a[144:147], v12 offset:4352                   // 0000000078C4: DBFE1100 9000000C
	ds_read_b128 a[148:151], v12 offset:4864                   // 0000000078CC: DBFE1300 9400000C
	v_mfma_f32_16x16x16_f16 v[72:75], v[94:95], a[98:99], v[72:75]// 0000000078D4: D3CD0048 1522C55E
	v_fma_f32 v48, v48, s57, -v124                             // 0000000078DC: D1CB0030 85F07330
	v_fma_f32 v49, v49, s57, -v125                             // 0000000078E4: D1CB0031 85F47331
	v_fma_f32 v50, v50, s57, -v126                             // 0000000078EC: D1CB0032 85F87332
	v_mfma_f32_16x16x16_f16 v[72:75], v[96:97], a[100:101], v[72:75]// 0000000078F4: D3CD0048 1522C960
	v_fma_f32 v51, v51, s57, -v127                             // 0000000078FC: D1CB0033 85FC7333
	v_fma_f32 v52, v52, s57, -v124                             // 000000007904: D1CB0034 85F07334
	v_fma_f32 v53, v53, s57, -v125                             // 00000000790C: D1CB0035 85F47335
	v_mfma_f32_16x16x16_f16 v[72:75], v[98:99], a[102:103], v[72:75]// 000000007914: D3CD0048 1522CD62
	v_fma_f32 v54, v54, s57, -v126                             // 00000000791C: D1CB0036 85F87336
	v_fma_f32 v55, v55, s57, -v127                             // 000000007924: D1CB0037 85FC7337
	v_fma_f32 v56, v56, s57, -v124                             // 00000000792C: D1CB0038 85F07338
	v_mfma_f32_16x16x16_f16 v[72:75], v[100:101], a[104:105], v[72:75]// 000000007934: D3CD0048 1522D164
	ds_read_b128 a[152:155], v12 offset:6528                   // 00000000793C: DBFE1980 9800000C
	ds_read_b128 a[156:159], v12 offset:7040                   // 000000007944: DBFE1B80 9C00000C
	v_mfma_f32_16x16x16_f16 v[72:75], v[102:103], a[106:107], v[72:75]// 00000000794C: D3CD0048 1522D566
	v_fma_f32 v57, v57, s57, -v125                             // 000000007954: D1CB0039 85F47339
	v_fma_f32 v58, v58, s57, -v126                             // 00000000795C: D1CB003A 85F8733A
	v_fma_f32 v59, v59, s57, -v127                             // 000000007964: D1CB003B 85FC733B
	v_mfma_f32_16x16x16_f16 v[72:75], v[104:105], a[108:109], v[72:75]// 00000000796C: D3CD0048 1522D968
	v_exp_f32_e32 v48, v48                                     // 000000007974: 7E604130
	v_mfma_f32_16x16x16_f16 v[72:75], v[106:107], a[110:111], v[72:75]// 000000007978: D3CD0048 1522DD6A
	v_exp_f32_e32 v49, v49                                     // 000000007980: 7E624131
	v_mfma_f32_16x16x16_f16 v[76:79], v[92:93], a[112:113], 0  // 000000007984: D3CD004C 1202E15C
	ds_read_b64 v[136:137], v19 offset:24320                   // 00000000798C: D8EC5F00 88000013
	ds_read_b64 v[138:139], v19 offset:26368                   // 000000007994: D8EC6700 8A000013
	v_mfma_f32_16x16x16_f16 v[76:79], v[94:95], a[114:115], v[76:79]// 00000000799C: D3CD004C 1532E55E
	v_exp_f32_e32 v50, v50                                     // 0000000079A4: 7E644132
	v_mfma_f32_16x16x16_f16 v[76:79], v[96:97], a[116:117], v[76:79]// 0000000079A8: D3CD004C 1532E960
	ds_read_b64 v[140:141], v19 offset:28416                   // 0000000079B0: D8EC6F00 8C000013
	ds_read_b64 v[142:143], v19 offset:30464                   // 0000000079B8: D8EC7700 8E000013
	v_mfma_f32_16x16x16_f16 v[76:79], v[98:99], a[118:119], v[76:79]// 0000000079C0: D3CD004C 1532ED62
	v_exp_f32_e32 v51, v51                                     // 0000000079C8: 7E664133
	v_mfma_f32_16x16x16_f16 v[76:79], v[100:101], a[120:121], v[76:79]// 0000000079CC: D3CD004C 1532F164
	v_exp_f32_e32 v52, v52                                     // 0000000079D4: 7E684134
	v_mfma_f32_16x16x16_f16 v[76:79], v[102:103], a[122:123], v[76:79]// 0000000079D8: D3CD004C 1532F566
	v_exp_f32_e32 v53, v53                                     // 0000000079E0: 7E6A4135
	v_mfma_f32_16x16x16_f16 v[76:79], v[104:105], a[124:125], v[76:79]// 0000000079E4: D3CD004C 1532F968
	v_exp_f32_e32 v54, v54                                     // 0000000079EC: 7E6C4136
	v_mfma_f32_16x16x16_f16 v[76:79], v[106:107], a[126:127], v[76:79]// 0000000079F0: D3CD004C 1532FD6A
	v_exp_f32_e32 v55, v55                                     // 0000000079F8: 7E6E4137
	v_mfma_f32_16x16x16_f16 v[80:83], v[92:93], a[128:129], 0  // 0000000079FC: D3CD0050 1203015C
	v_exp_f32_e32 v56, v56                                     // 000000007A04: 7E704138
	v_mfma_f32_16x16x16_f16 v[80:83], v[94:95], a[130:131], v[80:83]// 000000007A08: D3CD0050 1543055E
	v_exp_f32_e32 v57, v57                                     // 000000007A10: 7E724139
	v_mfma_f32_16x16x16_f16 v[80:83], v[96:97], a[132:133], v[80:83]// 000000007A14: D3CD0050 15430960
	v_exp_f32_e32 v58, v58                                     // 000000007A1C: 7E74413A
	v_mfma_f32_16x16x16_f16 v[80:83], v[98:99], a[134:135], v[80:83]// 000000007A20: D3CD0050 15430D62
	v_exp_f32_e32 v59, v59                                     // 000000007A28: 7E76413B
	v_mfma_f32_16x16x16_f16 v[80:83], v[100:101], a[136:137], v[80:83]// 000000007A2C: D3CD0050 15431164
	v_cvt_pkrtz_f16_f32 v144, v48, v49                         // 000000007A34: D2960090 00026330
	v_cvt_pkrtz_f16_f32 v145, v50, v51                         // 000000007A3C: D2960091 00026732
	v_cvt_pkrtz_f16_f32 v146, v52, v53                         // 000000007A44: D2960092 00026B34
	v_mfma_f32_16x16x16_f16 v[80:83], v[102:103], a[138:139], v[80:83]// 000000007A4C: D3CD0050 15431566
	v_cvt_pkrtz_f16_f32 v147, v54, v55                         // 000000007A54: D2960093 00026F36
	v_cvt_pkrtz_f16_f32 v148, v56, v57                         // 000000007A5C: D2960094 00027338
	v_cvt_pkrtz_f16_f32 v149, v58, v59                         // 000000007A64: D2960095 0002773A
	v_mfma_f32_16x16x16_f16 v[80:83], v[104:105], a[140:141], v[80:83]// 000000007A6C: D3CD0050 15431968
	v_add_u32_e32 v7, s66, v7                                  // 000000007A74: 680E0E42
	v_add_u32_e32 v8, s66, v8                                  // 000000007A78: 68101042
	v_mfma_f32_16x16x16_f16 v[80:83], v[106:107], a[142:143], v[80:83]// 000000007A7C: D3CD0050 15431D6A
	s_waitcnt lgkmcnt(0)                                       // 000000007A84: BF8CC07F
	s_barrier                                                  // 000000007A88: BF8A0000
	v_mfma_f32_16x16x16_f16 v[152:155], v[108:109], v[144:145], v[152:155]// 000000007A8C: D3CD0098 0663216C
	v_subrev_f32_dpp v72, v150, v72 quad_perm:[0,0,0,0] row_mask:0xf bank_mask:0xf// 000000007A94: 069090FA FF000096
	v_subrev_f32_dpp v73, v150, v73 quad_perm:[1,1,1,1] row_mask:0xf bank_mask:0xf// 000000007A9C: 069292FA FF005596
	v_subrev_f32_dpp v74, v150, v74 quad_perm:[2,2,2,2] row_mask:0xf bank_mask:0xf// 000000007AA4: 069494FA FF00AA96
	v_mfma_f32_16x16x16_f16 v[156:159], v[110:111], v[144:145], v[156:159]// 000000007AAC: D3CD009C 0673216E
	v_subrev_f32_dpp v75, v150, v75 quad_perm:[3,3,3,3] row_mask:0xf bank_mask:0xf// 000000007AB4: 069696FA FF00FF96
	v_subrev_f32_dpp v76, v150, v76 quad_perm:[0,0,0,0] row_mask:0xf bank_mask:0xf// 000000007ABC: 069898FA FF000096
	v_subrev_f32_dpp v77, v150, v77 quad_perm:[1,1,1,1] row_mask:0xf bank_mask:0xf// 000000007AC4: 069A9AFA FF005596
	v_mfma_f32_16x16x16_f16 v[160:163], v[112:113], v[144:145], v[160:163]// 000000007ACC: D3CD00A0 06832170
	v_mul_f32_e32 v72, v48, v72                                // 000000007AD4: 0A909130
	v_mul_f32_e32 v73, v49, v73                                // 000000007AD8: 0A929331
	v_mul_f32_e32 v74, v50, v74                                // 000000007ADC: 0A949532
	v_mfma_f32_16x16x16_f16 v[164:167], v[114:115], v[144:145], v[164:167]// 000000007AE0: D3CD00A4 06932172
	v_mul_f32_e32 v75, v51, v75                                // 000000007AE8: 0A969733
	v_mul_f32_e32 v76, v52, v76                                // 000000007AEC: 0A989934
	v_mul_f32_e32 v77, v53, v77                                // 000000007AF0: 0A9A9B35
	v_mfma_f32_16x16x16_f16 v[168:171], v[116:117], v[144:145], v[168:171]// 000000007AF4: D3CD00A8 06A32174
	v_cvt_pkrtz_f16_f32 v72, v72, v73                          // 000000007AFC: D2960048 00029348
	v_cvt_pkrtz_f16_f32 v73, v74, v75                          // 000000007B04: D2960049 0002974A
	v_cvt_pkrtz_f16_f32 v74, v76, v77                          // 000000007B0C: D296004A 00029B4C
	v_mfma_f32_16x16x16_f16 v[172:175], v[118:119], v[144:145], v[172:175]// 000000007B14: D3CD00AC 06B32176
	v_mov_b32_dpp v16, v72 quad_perm:[1,0,3,2] row_mask:0xf bank_mask:0xf// 000000007B1C: 7E2002FA FF00B148
	v_perm_b32 v48, v16, v72, v15                              // 000000007B24: D1ED0030 043E9110
	v_mov_b32_dpp v16, v73 quad_perm:[1,0,3,2] row_mask:0xf bank_mask:0xf// 000000007B2C: 7E2002FA FF00B149
	v_mfma_f32_16x16x16_f16 v[176:179], v[120:121], v[144:145], v[176:179]// 000000007B34: D3CD00B0 06C32178
	v_perm_b32 v49, v16, v73, v15                              // 000000007B3C: D1ED0031 043E9310
	v_mov_b32_dpp v16, v74 quad_perm:[1,0,3,2] row_mask:0xf bank_mask:0xf// 000000007B44: 7E2002FA FF00B14A
	v_perm_b32 v50, v16, v74, v15                              // 000000007B4C: D1ED0032 043E9510
	v_mfma_f32_16x16x16_f16 v[180:183], v[122:123], v[144:145], v[180:183]// 000000007B54: D3CD00B4 06D3217A
	ds_write_b32 v18, v48 offset:17408                         // 000000007B5C: D81A4400 00003012
	v_mfma_f32_16x16x16_f16 v[184:187], v[108:109], v[146:147], v[184:187]// 000000007B64: D3CD00B8 06E3256C
	v_subrev_f32_dpp v78, v150, v78 quad_perm:[2,2,2,2] row_mask:0xf bank_mask:0xf// 000000007B6C: 069C9CFA FF00AA96
	v_subrev_f32_dpp v79, v150, v79 quad_perm:[3,3,3,3] row_mask:0xf bank_mask:0xf// 000000007B74: 069E9EFA FF00FF96
	v_subrev_f32_dpp v80, v150, v80 quad_perm:[0,0,0,0] row_mask:0xf bank_mask:0xf// 000000007B7C: 06A0A0FA FF000096
	v_mfma_f32_16x16x16_f16 v[188:191], v[110:111], v[146:147], v[188:191]// 000000007B84: D3CD00BC 06F3256E
	ds_write_b32 v18, v49 offset:17952                         // 000000007B8C: D81A4620 00003112
	v_mfma_f32_16x16x16_f16 v[192:195], v[112:113], v[146:147], v[192:195]// 000000007B94: D3CD00C0 07032570
	v_subrev_f32_dpp v81, v150, v81 quad_perm:[1,1,1,1] row_mask:0xf bank_mask:0xf// 000000007B9C: 06A2A2FA FF005596
	v_subrev_f32_dpp v82, v150, v82 quad_perm:[2,2,2,2] row_mask:0xf bank_mask:0xf// 000000007BA4: 06A4A4FA FF00AA96
	v_subrev_f32_dpp v83, v150, v83 quad_perm:[3,3,3,3] row_mask:0xf bank_mask:0xf// 000000007BAC: 06A6A6FA FF00FF96
	v_mfma_f32_16x16x16_f16 v[196:199], v[114:115], v[146:147], v[196:199]// 000000007BB4: D3CD00C4 07132572
	ds_write_b32 v18, v50 offset:19712                         // 000000007BBC: D81A4D00 00003212
	v_mfma_f32_16x16x16_f16 v[200:203], v[116:117], v[146:147], v[200:203]// 000000007BC4: D3CD00C8 07232574
	v_mul_f32_e32 v78, v54, v78                                // 000000007BCC: 0A9C9D36
	v_mul_f32_e32 v79, v55, v79                                // 000000007BD0: 0A9E9F37
	v_mul_f32_e32 v80, v56, v80                                // 000000007BD4: 0AA0A138
	v_mfma_f32_16x16x16_f16 v[204:207], v[118:119], v[146:147], v[204:207]// 000000007BD8: D3CD00CC 07332576
	v_mul_f32_e32 v81, v57, v81                                // 000000007BE0: 0AA2A339
	v_mul_f32_e32 v82, v58, v82                                // 000000007BE4: 0AA4A53A
	v_mul_f32_e32 v83, v59, v83                                // 000000007BE8: 0AA6A73B
	v_mfma_f32_16x16x16_f16 v[208:211], v[120:121], v[146:147], v[208:211]// 000000007BEC: D3CD00D0 07432578
	v_cvt_pkrtz_f16_f32 v75, v78, v79                          // 000000007BF4: D296004B 00029F4E
	v_cvt_pkrtz_f16_f32 v76, v80, v81                          // 000000007BFC: D296004C 0002A350
	v_cvt_pkrtz_f16_f32 v77, v82, v83                          // 000000007C04: D296004D 0002A752
	v_mfma_f32_16x16x16_f16 v[212:215], v[122:123], v[146:147], v[212:215]// 000000007C0C: D3CD00D4 0753257A
	v_mov_b32_dpp v16, v75 quad_perm:[1,0,3,2] row_mask:0xf bank_mask:0xf// 000000007C14: 7E2002FA FF00B14B
	v_perm_b32 v51, v16, v75, v15                              // 000000007C1C: D1ED0033 043E9710
	v_mov_b32_dpp v16, v76 quad_perm:[1,0,3,2] row_mask:0xf bank_mask:0xf// 000000007C24: 7E2002FA FF00B14C
	v_mfma_f32_16x16x16_f16 v[216:219], v[108:109], v[148:149], v[216:219]// 000000007C2C: D3CD00D8 0763296C
	v_perm_b32 v52, v16, v76, v15                              // 000000007C34: D1ED0034 043E9910
	v_mov_b32_dpp v16, v77 quad_perm:[1,0,3,2] row_mask:0xf bank_mask:0xf// 000000007C3C: 7E2002FA FF00B14D
	v_perm_b32 v53, v16, v77, v15                              // 000000007C44: D1ED0035 043E9B10
	v_mfma_f32_16x16x16_f16 v[220:223], v[110:111], v[148:149], v[220:223]// 000000007C4C: D3CD00DC 0773296E
	ds_write_b32 v18, v51 offset:20256                         // 000000007C54: D81A4F20 00003312
	v_mfma_f32_16x16x16_f16 v[224:227], v[112:113], v[148:149], v[224:227]// 000000007C5C: D3CD00E0 07832970
	v_mfma_f32_16x16x16_f16 v[228:231], v[114:115], v[148:149], v[228:231]// 000000007C64: D3CD00E4 07932972
	ds_write_b32 v18, v52 offset:22016                         // 000000007C6C: D81A5600 00003412
	ds_write_b32 v18, v53 offset:22560                         // 000000007C74: D81A5820 00003512
	v_mfma_f32_16x16x16_f16 v[232:235], v[116:117], v[148:149], v[232:235]// 000000007C7C: D3CD00E8 07A32974
	v_mfma_f32_16x16x16_f16 v[236:239], v[118:119], v[148:149], v[236:239]// 000000007C84: D3CD00EC 07B32976
	ds_write_b32 v13, v84 offset:4352                          // 000000007C8C: D81A1100 0000540D
	ds_write_b32 v13, v85 offset:5408                          // 000000007C94: D81A1520 0000550D
	v_mfma_f32_16x16x16_f16 v[240:243], v[120:121], v[148:149], v[240:243]// 000000007C9C: D3CD00F0 07C32978
	s_nop 0                                                    // 000000007CA4: BF800000
	s_nop 0                                                    // 000000007CA8: BF800000
	s_nop 0                                                    // 000000007CAC: BF800000
	v_mfma_f32_16x16x16_f16 v[244:247], v[122:123], v[148:149], v[244:247]// 000000007CB0: D3CD00F4 07D3297A
	ds_write_b32 v13, v86 offset:4480                          // 000000007CB8: D81A1180 0000560D
	ds_write_b32 v13, v87 offset:5536                          // 000000007CC0: D81A15A0 0000570D
	s_barrier                                                  // 000000007CC8: BF8A0000
	v_mfma_f32_16x16x16_f16 a[160:163], a[144:145], v[72:73], a[160:163]// 000000007CCC: D3CD80A0 0E829190
	buffer_atomic_add_f32 v136, v7, s[32:35], 0 offen          // 000000007CD4: E1341000 80088807
	v_mfma_f32_16x16x16_f16 a[164:167], a[146:147], v[72:73], a[164:167]// 000000007CDC: D3CD80A4 0E929192
	ds_read_b32 v124, v21 offset:50688                         // 000000007CE4: D86CC600 7C000015
	ds_read_b32 v150, v21 offset:50944                         // 000000007CEC: D86CC700 96000015
	v_mfma_f32_16x16x16_f16 a[168:171], a[148:149], v[72:73], a[168:171]// 000000007CF4: D3CD80A8 0EA29194
	s_waitcnt lgkmcnt(6)                                       // 000000007CFC: BF8CC67F
	s_barrier                                                  // 000000007D00: BF8A0000
	v_mfma_f32_16x16x16_f16 a[172:175], a[150:151], v[72:73], a[172:175]// 000000007D04: D3CD80AC 0EB29196
	ds_read_b128 v[48:51], v17 offset:17408                    // 000000007D0C: D9FE4400 30000011
	v_mfma_f32_16x16x16_f16 a[176:179], a[152:153], v[72:73], a[176:179]// 000000007D14: D3CD80B0 0EC29198
	v_mfma_f32_16x16x16_f16 a[180:183], a[154:155], v[72:73], a[180:183]// 000000007D1C: D3CD80B4 0ED2919A
	ds_read_b128 v[52:55], v17 offset:18560                    // 000000007D24: D9FE4880 34000011
	v_mfma_f32_16x16x16_f16 a[184:187], a[156:157], v[72:73], a[184:187]// 000000007D2C: D3CD80B8 0EE2919C
	buffer_atomic_add_f32 v137, v8, s[32:35], 0 offen          // 000000007D34: E1341000 80088908
	v_mfma_f32_16x16x16_f16 a[188:191], a[158:159], v[72:73], a[188:191]// 000000007D3C: D3CD80BC 0EF2919E
	ds_read_b128 v[56:59], v17 offset:19712                    // 000000007D44: D9FE4D00 38000011
	v_mfma_f32_16x16x16_f16 a[192:195], a[144:145], v[74:75], a[192:195]// 000000007D4C: D3CD80C0 0F029590
	v_mfma_f32_16x16x16_f16 a[196:199], a[146:147], v[74:75], a[196:199]// 000000007D54: D3CD80C4 0F129592
	ds_read_b128 v[60:63], v17 offset:20864                    // 000000007D5C: D9FE5180 3C000011
	v_mfma_f32_16x16x16_f16 a[200:203], a[148:149], v[74:75], a[200:203]// 000000007D64: D3CD80C8 0F229594
	v_mfma_f32_16x16x16_f16 a[204:207], a[150:151], v[74:75], a[204:207]// 000000007D6C: D3CD80CC 0F329596
	ds_read_b128 v[64:67], v17 offset:22016                    // 000000007D74: D9FE5600 40000011
	v_mfma_f32_16x16x16_f16 a[208:211], a[152:153], v[74:75], a[208:211]// 000000007D7C: D3CD80D0 0F429598
	buffer_atomic_add_f32 v138, v7, s[32:35], 0 offen offset:128// 000000007D84: E1341080 80088A07
	v_mfma_f32_16x16x16_f16 a[212:215], a[154:155], v[74:75], a[212:215]// 000000007D8C: D3CD80D4 0F52959A
	ds_read_b128 v[68:71], v17 offset:23168                    // 000000007D94: D9FE5A80 44000011
	v_mfma_f32_16x16x16_f16 a[216:219], a[156:157], v[74:75], a[216:219]// 000000007D9C: D3CD80D8 0F62959C
	v_mfma_f32_16x16x16_f16 a[220:223], a[158:159], v[74:75], a[220:223]// 000000007DA4: D3CD80DC 0F72959E
	ds_write_b32 v13, v88 offset:13056                         // 000000007DAC: D81A3300 0000580D
	v_mfma_f32_16x16x16_f16 a[224:227], a[144:145], v[76:77], a[224:227]// 000000007DB4: D3CD80E0 0F829990
	v_mfma_f32_16x16x16_f16 a[228:231], a[146:147], v[76:77], a[228:231]// 000000007DBC: D3CD80E4 0F929992
	ds_write_b32 v13, v89 offset:14112                         // 000000007DC4: D81A3720 0000590D
	v_mfma_f32_16x16x16_f16 a[232:235], a[148:149], v[76:77], a[232:235]// 000000007DCC: D3CD80E8 0FA29994
	buffer_atomic_add_f32 v139, v8, s[32:35], 0 offen offset:128// 000000007DD4: E1341080 80088B08
	v_mfma_f32_16x16x16_f16 a[236:239], a[150:151], v[76:77], a[236:239]// 000000007DDC: D3CD80EC 0FB29996
	ds_write_b32 v13, v90 offset:13184                         // 000000007DE4: D81A3380 00005A0D
	v_mfma_f32_16x16x16_f16 a[240:243], a[152:153], v[76:77], a[240:243]// 000000007DEC: D3CD80F0 0FC29998
	v_mfma_f32_16x16x16_f16 a[244:247], a[154:155], v[76:77], a[244:247]// 000000007DF4: D3CD80F4 0FD2999A
	ds_write_b32 v13, v91 offset:14240                         // 000000007DFC: D81A37A0 00005B0D
	v_mfma_f32_16x16x16_f16 a[248:251], a[156:157], v[76:77], a[248:251]// 000000007E04: D3CD80F8 0FE2999C
	v_mfma_f32_16x16x16_f16 a[252:255], a[158:159], v[76:77], a[252:255]// 000000007E0C: D3CD80FC 0FF2999E
	s_waitcnt vmcnt(8) lgkmcnt(4)                              // 000000007E14: BF8C0478
	s_barrier                                                  // 000000007E18: BF8A0000
	v_mfma_f32_16x16x16_f16 v[128:131], v[48:49], a[48:49], 0  // 000000007E1C: D3CD0080 12026130
	v_mul_f32_e32 v124, s48, v124                              // 000000007E24: 0AF8F830
	s_nop 0                                                    // 000000007E28: BF800000
	v_mfma_f32_16x16x16_f16 v[128:131], v[50:51], a[52:53], v[128:131]// 000000007E2C: D3CD0080 16026932
	ds_read_b128 a[144:147], v10                               // 000000007E34: DBFE0000 9000000A
	v_mov_b32_e32 v32, 0                                       // 000000007E3C: 7E400280
	s_mov_b64 exec, s[88:89]                                   // 000000007E40: BEFE0158
	buffer_load_dword v32, v1, s[8:11], 0 idxen                // 000000007E44: E0502000 80022001
	s_mov_b32 exec_lo, -1                                      // 000000007E4C: BEFE00C1
	s_mov_b32 exec_hi, -1                                      // 000000007E50: BEFF00C1
	v_mfma_f32_16x16x16_f16 v[128:131], v[52:53], a[56:57], v[128:131]// 000000007E54: D3CD0080 16027134
	v_mfma_f32_16x16x16_f16 v[128:131], v[54:55], a[60:61], v[128:131]// 000000007E5C: D3CD0080 16027936
	ds_read_b128 a[148:151], v10 offset:512                    // 000000007E64: DBFE0200 9400000A
	v_mov_b32_e32 v33, 0                                       // 000000007E6C: 7E420280
	s_mov_b64 exec, s[88:89]                                   // 000000007E70: BEFE0158
	buffer_load_dword v33, v2, s[8:11], 0 idxen                // 000000007E74: E0502000 80022102
	s_mov_b32 exec_lo, -1                                      // 000000007E7C: BEFE00C1
	s_mov_b32 exec_hi, -1                                      // 000000007E80: BEFF00C1
	v_mfma_f32_16x16x16_f16 v[128:131], v[56:57], a[64:65], v[128:131]// 000000007E84: D3CD0080 16028138
	v_perm_b32 v84, v37, v36, s63                              // 000000007E8C: D1ED0054 00FE4925
	v_perm_b32 v85, v37, v36, s64                              // 000000007E94: D1ED0055 01024925
	v_mfma_f32_16x16x16_f16 v[128:131], v[58:59], a[68:69], v[128:131]// 000000007E9C: D3CD0080 1602893A
	ds_read_b128 a[152:155], v10 offset:2176                   // 000000007EA4: DBFE0880 9800000A
	v_mov_b32_e32 v34, 0                                       // 000000007EAC: 7E440280
	s_mov_b64 exec, s[88:89]                                   // 000000007EB0: BEFE0158
	buffer_load_dword v34, v3, s[8:11], 0 idxen                // 000000007EB4: E0502000 80022203
	s_mov_b32 exec_lo, -1                                      // 000000007EBC: BEFE00C1
	s_mov_b32 exec_hi, -1                                      // 000000007EC0: BEFF00C1
	v_mfma_f32_16x16x16_f16 v[128:131], v[60:61], a[72:73], v[128:131]// 000000007EC4: D3CD0080 1602913C
	v_perm_b32 v86, v39, v38, s63                              // 000000007ECC: D1ED0056 00FE4D27
	v_perm_b32 v87, v39, v38, s64                              // 000000007ED4: D1ED0057 01024D27
	v_mfma_f32_16x16x16_f16 v[128:131], v[62:63], a[76:77], v[128:131]// 000000007EDC: D3CD0080 1602993E
	ds_read_b128 a[156:159], v10 offset:2688                   // 000000007EE4: DBFE0A80 9C00000A
	v_mov_b32_e32 v35, 0                                       // 000000007EEC: 7E460280
	s_mov_b64 exec, s[88:89]                                   // 000000007EF0: BEFE0158
	buffer_load_dword v35, v4, s[8:11], 0 idxen                // 000000007EF4: E0502000 80022304
	s_mov_b32 exec_lo, -1                                      // 000000007EFC: BEFE00C1
	s_mov_b32 exec_hi, -1                                      // 000000007F00: BEFF00C1
	v_mfma_f32_16x16x16_f16 v[128:131], v[64:65], a[80:81], v[128:131]// 000000007F04: D3CD0080 1602A140
	v_perm_b32 v88, v45, v44, s63                              // 000000007F0C: D1ED0058 00FE592D
	v_perm_b32 v89, v45, v44, s64                              // 000000007F14: D1ED0059 0102592D
	v_mfma_f32_16x16x16_f16 v[128:131], v[66:67], a[84:85], v[128:131]// 000000007F1C: D3CD0080 1602A942
	ds_read_b128 v[92:95], v10 offset:8704                     // 000000007F24: D9FE2200 5C00000A
	v_mov_b32_e32 v40, 0                                       // 000000007F2C: 7E500280
	s_mov_b64 exec, s[88:89]                                   // 000000007F30: BEFE0158
	buffer_load_dword v40, v248, s[20:23], 0 idxen             // 000000007F34: E0502000 800528F8
	s_mov_b32 exec_lo, -1                                      // 000000007F3C: BEFE00C1
	s_mov_b32 exec_hi, -1                                      // 000000007F40: BEFF00C1
	v_mfma_f32_16x16x16_f16 v[128:131], v[68:69], a[88:89], v[128:131]// 000000007F44: D3CD0080 1602B144
	v_perm_b32 v90, v47, v46, s63                              // 000000007F4C: D1ED005A 00FE5D2F
	v_perm_b32 v91, v47, v46, s64                              // 000000007F54: D1ED005B 01025D2F
	v_mfma_f32_16x16x16_f16 v[128:131], v[70:71], a[92:93], v[128:131]// 000000007F5C: D3CD0080 1602B946
	ds_read_b128 v[96:99], v10 offset:9216                     // 000000007F64: D9FE2400 6000000A
	v_mov_b32_e32 v41, 0                                       // 000000007F6C: 7E520280
	s_mov_b64 exec, s[88:89]                                   // 000000007F70: BEFE0158
	buffer_load_dword v41, v249, s[20:23], 0 idxen             // 000000007F74: E0502000 800529F9
	s_mov_b32 exec_lo, -1                                      // 000000007F7C: BEFE00C1
	s_mov_b32 exec_hi, -1                                      // 000000007F80: BEFF00C1
	v_mfma_f32_16x16x16_f16 v[132:135], v[48:49], a[50:51], 0  // 000000007F84: D3CD0084 12026530
	v_mov_b32_dpp v127, v124 quad_perm:[3,3,3,3] row_mask:0xf bank_mask:0xf// 000000007F8C: 7EFE02FA FF00FF7C
	v_mov_b32_dpp v126, v124 quad_perm:[2,2,2,2] row_mask:0xf bank_mask:0xf// 000000007F94: 7EFC02FA FF00AA7C
	v_mfma_f32_16x16x16_f16 v[132:135], v[50:51], a[54:55], v[132:135]// 000000007F9C: D3CD0084 16126D32
	ds_read_b128 v[100:103], v10 offset:10880                  // 000000007FA4: D9FE2A80 6400000A
	v_mov_b32_e32 v42, 0                                       // 000000007FAC: 7E540280
	s_mov_b64 exec, s[88:89]                                   // 000000007FB0: BEFE0158
	buffer_load_dword v42, v250, s[20:23], 0 idxen             // 000000007FB4: E0502000 80052AFA
	s_mov_b32 exec_lo, -1                                      // 000000007FBC: BEFE00C1
	s_mov_b32 exec_hi, -1                                      // 000000007FC0: BEFF00C1
	v_mfma_f32_16x16x16_f16 v[132:135], v[52:53], a[58:59], v[132:135]// 000000007FC4: D3CD0084 16127534
	v_mov_b32_dpp v125, v124 quad_perm:[1,1,1,1] row_mask:0xf bank_mask:0xf// 000000007FCC: 7EFA02FA FF00557C
	v_mov_b32_dpp v124, v124 quad_perm:[0,0,0,0] row_mask:0xf bank_mask:0xf// 000000007FD4: 7EF802FA FF00007C
	s_add_u32 s60, 64, s59                                     // 000000007FDC: 803C3BC0
	v_mfma_f32_16x16x16_f16 v[132:135], v[54:55], a[62:63], v[132:135]// 000000007FE0: D3CD0084 16127D36
	ds_read_b128 v[104:107], v10 offset:11392                  // 000000007FE8: D9FE2C80 6800000A
	v_mov_b32_e32 v43, 0                                       // 000000007FF0: 7E560280
	s_mov_b64 exec, s[88:89]                                   // 000000007FF4: BEFE0158
	buffer_load_dword v43, v251, s[20:23], 0 idxen             // 000000007FF8: E0502000 80052BFB
	s_mov_b32 exec_lo, -1                                      // 000000008000: BEFE00C1
	s_mov_b32 exec_hi, -1                                      // 000000008004: BEFF00C1
	v_mfma_f32_16x16x16_f16 v[132:135], v[56:57], a[66:67], v[132:135]// 000000008008: D3CD0084 16128538
	s_cmp_lt_u32 s60, s58                                      // 000000008010: BF0A3A3C
	s_cselect_b32 s68, s68, 0                                  // 000000008014: 85448044
	s_cselect_b32 s99, s99, 0                                  // 000000008018: 85638063
	s_cselect_b32 s69, s69, 0                                  // 00000000801C: 85458045
	v_mfma_f32_16x16x16_f16 v[132:135], v[58:59], a[70:71], v[132:135]// 000000008020: D3CD0084 16128D3A
	buffer_load_dword v9, s[24:27], 0 idxen lds                // 000000008028: E0512000 80060009
	v_mfma_f32_16x16x16_f16 v[132:135], v[60:61], a[74:75], v[132:135]// 000000008030: D3CD0084 1612953C
	v_add_u32_e32 v1, s68, v1                                  // 000000008038: 68020244
	v_add_u32_e32 v2, s68, v2                                  // 00000000803C: 68040444
	v_add_u32_e32 v3, s68, v3                                  // 000000008040: 68060644
	v_add_u32_e32 v4, s68, v4                                  // 000000008044: 68080844
	v_mfma_f32_16x16x16_f16 v[132:135], v[62:63], a[78:79], v[132:135]// 000000008048: D3CD0084 16129D3E
	v_add_u32_e32 v248, s99, v248                              // 000000008050: 69F1F063
	v_add_u32_e32 v249, s99, v249                              // 000000008054: 69F3F263
	v_add_u32_e32 v250, s99, v250                              // 000000008058: 69F5F463
	v_add_u32_e32 v251, s99, v251                              // 00000000805C: 69F7F663
	v_mfma_f32_16x16x16_f16 v[132:135], v[64:65], a[82:83], v[132:135]// 000000008060: D3CD0084 1612A540
	s_mov_b32 m0, s79                                          // 000000008068: BEFC004F
	v_add_u32_e32 v9, s69, v9                                  // 00000000806C: 68121245
	v_mfma_f32_16x16x16_f16 v[132:135], v[66:67], a[86:87], v[132:135]// 000000008070: D3CD0084 1612AD42
	s_cmp_ge_u32 s59, s73                                      // 000000008078: BF09493B
	s_cselect_b32 s66, s67, s66                                // 00000000807C: 85424243
	v_mfma_f32_16x16x16_f16 v[132:135], v[68:69], a[90:91], v[132:135]// 000000008080: D3CD0084 1612B544
	s_addk_i32 s59, 0x10                                       // 000000008088: B73B0010
	s_nop 0                                                    // 00000000808C: BF800000
	s_cmp_lt_i32 s59, s58                                      // 000000008090: BF043A3B
	v_mfma_f32_16x16x16_f16 v[132:135], v[70:71], a[94:95], v[132:135]// 000000008094: D3CD0084 1612BD46
	s_cbranch_scc0 label_10B3                                  // 00000000809C: BF840001
	s_branch label_0A5E                                        // 0000000080A0: BF82F9B5

00000000000080a4 <label_10B3>:
	s_nop 0                                                    // 0000000080A4: BF800000
	s_nop 0                                                    // 0000000080A8: BF800000
	s_nop 0                                                    // 0000000080AC: BF800000
	s_nop 0                                                    // 0000000080B0: BF800000
	s_nop 0                                                    // 0000000080B4: BF800000
	s_nop 0                                                    // 0000000080B8: BF800000
	s_branch label_170F                                        // 0000000080BC: BF82064B

00000000000080c0 <label_10BA>:
	s_waitcnt lgkmcnt(0)                                       // 0000000080C0: BF8CC07F
	s_barrier                                                  // 0000000080C4: BF8A0000
	v_mfma_f32_16x16x16_f16 v[48:51], a[144:145], a[0:1], 0    // 0000000080C8: D3CD0030 1A020190
	v_mul_f32_e32 v128, s47, v128                              // 0000000080D0: 0B01002F
	v_mul_f32_e32 v129, s47, v129                              // 0000000080D4: 0B03022F
	v_mfma_f32_16x16x16_f16 v[48:51], a[146:147], a[2:3], v[48:51]// 0000000080D8: D3CD0030 1CC20592
	ds_write_b32 v11, v44 offset:8704                          // 0000000080E0: D81A2200 00002C0B
	ds_write_b32 v11, v45 offset:9760                          // 0000000080E8: D81A2620 00002D0B
	v_mfma_f32_16x16x16_f16 v[48:51], a[148:149], a[4:5], v[48:51]// 0000000080F0: D3CD0030 1CC20994
	v_mul_f32_e32 v130, s47, v130                              // 0000000080F8: 0B05042F
	v_mul_f32_e32 v131, s47, v131                              // 0000000080FC: 0B07062F
	v_mfma_f32_16x16x16_f16 v[48:51], a[150:151], a[6:7], v[48:51]// 000000008100: D3CD0030 1CC20D96
	ds_write_b32 v11, v46 offset:8832                          // 000000008108: D81A2280 00002E0B
	ds_write_b32 v11, v47 offset:9888                          // 000000008110: D81A26A0 00002F0B
	v_mfma_f32_16x16x16_f16 v[48:51], a[152:153], a[8:9], v[48:51]// 000000008118: D3CD0030 1CC21198
	v_mul_f32_e32 v132, s47, v132                              // 000000008120: 0B09082F
	v_mul_f32_e32 v133, s47, v133                              // 000000008124: 0B0B0A2F
	v_mfma_f32_16x16x16_f16 v[48:51], a[154:155], a[10:11], v[48:51]// 000000008128: D3CD0030 1CC2159A
	ds_write_b64 v20, v[128:129] offset:24320                  // 000000008130: D89A5F00 00008014
	v_mfma_f32_16x16x16_f16 v[48:51], a[156:157], a[12:13], v[48:51]// 000000008138: D3CD0030 1CC2199C
	v_mul_f32_e32 v134, s47, v134                              // 000000008140: 0B0D0C2F
	v_mul_f32_e32 v135, s47, v135                              // 000000008144: 0B0F0E2F
	v_mfma_f32_16x16x16_f16 v[48:51], a[158:159], a[14:15], v[48:51]// 000000008148: D3CD0030 1CC21D9E
	ds_write_b64 v20, v[130:131] offset:24832                  // 000000008150: D89A6100 00008214
	v_mfma_f32_16x16x16_f16 v[52:55], a[144:145], a[16:17], 0  // 000000008158: D3CD0034 1A022190
	buffer_atomic_add_f32 v140, v7, s[32:35], 0 offen offset:256// 000000008160: E1341100 80088C07
	v_mfma_f32_16x16x16_f16 v[52:55], a[146:147], a[18:19], v[52:55]// 000000008168: D3CD0034 1CD22592
	ds_write_b64 v20, v[132:133] offset:25344                  // 000000008170: D89A6300 00008414
	v_mfma_f32_16x16x16_f16 v[52:55], a[148:149], a[20:21], v[52:55]// 000000008178: D3CD0034 1CD22994
	v_mfma_f32_16x16x16_f16 v[52:55], a[150:151], a[22:23], v[52:55]// 000000008180: D3CD0034 1CD22D96
	ds_write_b64 v20, v[134:135] offset:25856                  // 000000008188: D89A6500 00008614
	v_mfma_f32_16x16x16_f16 v[52:55], a[152:153], a[24:25], v[52:55]// 000000008190: D3CD0034 1CD23198
	buffer_atomic_add_f32 v141, v8, s[32:35], 0 offen offset:256// 000000008198: E1341100 80088D08
	v_mfma_f32_16x16x16_f16 v[52:55], a[154:155], a[26:27], v[52:55]// 0000000081A0: D3CD0034 1CD2359A
	ds_read_b128 v[108:111], v12 offset:13056                  // 0000000081A8: D9FE3300 6C00000C
	ds_write_b32 v11, v36                                      // 0000000081B0: D81A0000 0000240B
	v_mfma_f32_16x16x16_f16 v[52:55], a[156:157], a[28:29], v[52:55]// 0000000081B8: D3CD0034 1CD2399C
	v_mfma_f32_16x16x16_f16 v[52:55], a[158:159], a[30:31], v[52:55]// 0000000081C0: D3CD0034 1CD23D9E
	v_mfma_f32_16x16x16_f16 v[56:59], a[144:145], a[32:33], 0  // 0000000081C8: D3CD0038 1A024190
	ds_read_b128 v[112:115], v12 offset:13568                  // 0000000081D0: D9FE3500 7000000C
	ds_write_b32 v11, v37 offset:1056                          // 0000000081D8: D81A0420 0000250B
	v_mfma_f32_16x16x16_f16 v[56:59], a[146:147], a[34:35], v[56:59]// 0000000081E0: D3CD0038 1CE24592
	buffer_atomic_add_f32 v142, v7, s[32:35], 0 offen offset:384// 0000000081E8: E1341180 80088E07
	v_mfma_f32_16x16x16_f16 v[56:59], a[148:149], a[36:37], v[56:59]// 0000000081F0: D3CD0038 1CE24994
	v_mfma_f32_16x16x16_f16 v[56:59], a[150:151], a[38:39], v[56:59]// 0000000081F8: D3CD0038 1CE24D96
	ds_read_b128 v[116:119], v12 offset:15232                  // 000000008200: D9FE3B80 7400000C
	ds_write_b32 v11, v38 offset:128                           // 000000008208: D81A0080 0000260B
	v_mfma_f32_16x16x16_f16 v[56:59], a[152:153], a[40:41], v[56:59]// 000000008210: D3CD0038 1CE25198
	v_mfma_f32_16x16x16_f16 v[56:59], a[154:155], a[42:43], v[56:59]// 000000008218: D3CD0038 1CE2559A
	buffer_atomic_add_f32 v143, v8, s[32:35], 0 offen offset:384// 000000008220: E1341180 80088F08
	v_mfma_f32_16x16x16_f16 v[56:59], a[156:157], a[44:45], v[56:59]// 000000008228: D3CD0038 1CE2599C
	ds_read_b128 v[120:123], v12 offset:15744                  // 000000008230: D9FE3D80 7800000C
	ds_write_b32 v11, v39 offset:1184                          // 000000008238: D81A04A0 0000270B
	v_mfma_f32_16x16x16_f16 v[56:59], a[158:159], a[46:47], v[56:59]// 000000008240: D3CD0038 1CE25D9E
	s_cmp_lt_i32 s74, 12                                       // 000000008248: BF048C4A
	s_cbranch_scc0 label_1193                                  // 00000000824C: BF840075
	s_mov_b32 s60, 0xffe0fffe                                  // 000000008250: BEBC00FF FFE0FFFE
	s_mov_b32 s61, 0xe000fe00                                  // 000000008258: BEBD00FF E000FE00
	s_nop 0                                                    // 000000008260: BF800000
	s_add_u32 s62, 0, s46                                      // 000000008264: 803E2E80
	s_cmp_lt_i32 s74, s62                                      // 000000008268: BF043E4A
	s_cbranch_scc1 label_114E                                  // 00000000826C: BF850028
	s_cmp_eq_i32 s74, s62                                      // 000000008270: BF003E4A
	s_cbranch_scc1 label_1133                                  // 000000008274: BF85000B
	s_add_u32 s62, 4, s46                                      // 000000008278: 803E2E84
	s_cmp_lt_i32 s74, s62                                      // 00000000827C: BF043E4A
	s_cbranch_scc1 label_116E                                  // 000000008280: BF850043
	s_cmp_eq_i32 s74, s62                                      // 000000008284: BF003E4A
	s_cbranch_scc1 label_1153                                  // 000000008288: BF850026
	s_add_u32 s62, 8, s46                                      // 00000000828C: 803E2E88
	s_cmp_lt_i32 s74, s62                                      // 000000008290: BF043E4A
	s_cbranch_scc1 label_118E                                  // 000000008294: BF85005E
	s_cmp_eq_i32 s74, s62                                      // 000000008298: BF003E4A
	s_cbranch_scc1 label_1173                                  // 00000000829C: BF850041
	s_branch label_1193                                        // 0000000082A0: BF820060

00000000000082a4 <label_1133>:
	v_cndmask_b32_e64 v48, v48, v151, s[60:61]                 // 0000000082A4: D1000030 00F32F30
	s_lshl_b32 s60, s60, 1                                     // 0000000082AC: 8E3C813C
	s_lshl_b32 s61, s61, 1                                     // 0000000082B0: 8E3D813D
	s_and_b32 s60, 0xfffeffff, s60                             // 0000000082B4: 863C3CFF FFFEFFFF
	s_and_b32 s61, 0xfffeffff, s61                             // 0000000082BC: 863D3DFF FFFEFFFF
	v_cndmask_b32_e64 v49, v49, v151, s[60:61]                 // 0000000082C4: D1000031 00F32F31
	s_lshl_b32 s60, s60, 1                                     // 0000000082CC: 8E3C813C
	s_lshl_b32 s61, s61, 1                                     // 0000000082D0: 8E3D813D
	s_and_b32 s60, 0xfffeffff, s60                             // 0000000082D4: 863C3CFF FFFEFFFF
	s_and_b32 s61, 0xfffeffff, s61                             // 0000000082DC: 863D3DFF FFFEFFFF
	v_cndmask_b32_e64 v50, v50, v151, s[60:61]                 // 0000000082E4: D1000032 00F32F32
	s_lshl_b32 s60, s60, 1                                     // 0000000082EC: 8E3C813C
	s_lshl_b32 s61, s61, 1                                     // 0000000082F0: 8E3D813D
	s_and_b32 s60, 0xfffeffff, s60                             // 0000000082F4: 863C3CFF FFFEFFFF
	s_and_b32 s61, 0xfffeffff, s61                             // 0000000082FC: 863D3DFF FFFEFFFF
	v_cndmask_b32_e64 v51, v51, v151, s[60:61]                 // 000000008304: D1000033 00F32F33
	s_branch label_116E                                        // 00000000830C: BF820020

0000000000008310 <label_114E>:
	v_mov_b32_e32 v48, v151                                    // 000000008310: 7E600397
	v_mov_b32_e32 v49, v151                                    // 000000008314: 7E620397
	v_mov_b32_e32 v50, v151                                    // 000000008318: 7E640397
	v_mov_b32_e32 v51, v151                                    // 00000000831C: 7E660397
	s_branch label_116E                                        // 000000008320: BF82001B

0000000000008324 <label_1153>:
	v_cndmask_b32_e64 v52, v52, v151, s[60:61]                 // 000000008324: D1000034 00F32F34
	s_lshl_b32 s60, s60, 1                                     // 00000000832C: 8E3C813C
	s_lshl_b32 s61, s61, 1                                     // 000000008330: 8E3D813D
	s_and_b32 s60, 0xfffeffff, s60                             // 000000008334: 863C3CFF FFFEFFFF
	s_and_b32 s61, 0xfffeffff, s61                             // 00000000833C: 863D3DFF FFFEFFFF
	v_cndmask_b32_e64 v53, v53, v151, s[60:61]                 // 000000008344: D1000035 00F32F35
	s_lshl_b32 s60, s60, 1                                     // 00000000834C: 8E3C813C
	s_lshl_b32 s61, s61, 1                                     // 000000008350: 8E3D813D
	s_and_b32 s60, 0xfffeffff, s60                             // 000000008354: 863C3CFF FFFEFFFF
	s_and_b32 s61, 0xfffeffff, s61                             // 00000000835C: 863D3DFF FFFEFFFF
	v_cndmask_b32_e64 v54, v54, v151, s[60:61]                 // 000000008364: D1000036 00F32F36
	s_lshl_b32 s60, s60, 1                                     // 00000000836C: 8E3C813C
	s_lshl_b32 s61, s61, 1                                     // 000000008370: 8E3D813D
	s_and_b32 s60, 0xfffeffff, s60                             // 000000008374: 863C3CFF FFFEFFFF
	s_and_b32 s61, 0xfffeffff, s61                             // 00000000837C: 863D3DFF FFFEFFFF
	v_cndmask_b32_e64 v55, v55, v151, s[60:61]                 // 000000008384: D1000037 00F32F37
	s_branch label_118E                                        // 00000000838C: BF820020

0000000000008390 <label_116E>:
	v_mov_b32_e32 v52, v151                                    // 000000008390: 7E680397
	v_mov_b32_e32 v53, v151                                    // 000000008394: 7E6A0397
	v_mov_b32_e32 v54, v151                                    // 000000008398: 7E6C0397
	v_mov_b32_e32 v55, v151                                    // 00000000839C: 7E6E0397
	s_branch label_118E                                        // 0000000083A0: BF82001B

00000000000083a4 <label_1173>:
	v_cndmask_b32_e64 v56, v56, v151, s[60:61]                 // 0000000083A4: D1000038 00F32F38
	s_lshl_b32 s60, s60, 1                                     // 0000000083AC: 8E3C813C
	s_lshl_b32 s61, s61, 1                                     // 0000000083B0: 8E3D813D
	s_and_b32 s60, 0xfffeffff, s60                             // 0000000083B4: 863C3CFF FFFEFFFF
	s_and_b32 s61, 0xfffeffff, s61                             // 0000000083BC: 863D3DFF FFFEFFFF
	v_cndmask_b32_e64 v57, v57, v151, s[60:61]                 // 0000000083C4: D1000039 00F32F39
	s_lshl_b32 s60, s60, 1                                     // 0000000083CC: 8E3C813C
	s_lshl_b32 s61, s61, 1                                     // 0000000083D0: 8E3D813D
	s_and_b32 s60, 0xfffeffff, s60                             // 0000000083D4: 863C3CFF FFFEFFFF
	s_and_b32 s61, 0xfffeffff, s61                             // 0000000083DC: 863D3DFF FFFEFFFF
	v_cndmask_b32_e64 v58, v58, v151, s[60:61]                 // 0000000083E4: D100003A 00F32F3A
	s_lshl_b32 s60, s60, 1                                     // 0000000083EC: 8E3C813C
	s_lshl_b32 s61, s61, 1                                     // 0000000083F0: 8E3D813D
	s_and_b32 s60, 0xfffeffff, s60                             // 0000000083F4: 863C3CFF FFFEFFFF
	s_and_b32 s61, 0xfffeffff, s61                             // 0000000083FC: 863D3DFF FFFEFFFF
	v_cndmask_b32_e64 v59, v59, v151, s[60:61]                 // 000000008404: D100003B 00F32F3B
	s_branch label_1193                                        // 00000000840C: BF820005

0000000000008410 <label_118E>:
	v_mov_b32_e32 v56, v151                                    // 000000008410: 7E700397
	v_mov_b32_e32 v57, v151                                    // 000000008414: 7E720397
	v_mov_b32_e32 v58, v151                                    // 000000008418: 7E740397
	v_mov_b32_e32 v59, v151                                    // 00000000841C: 7E760397
	s_branch label_1193                                        // 000000008420: BF820000

0000000000008424 <label_1193>:
	s_cmp_lt_i32 s100, 0xc0                                    // 000000008424: BF04FF64 000000C0
	s_cbranch_scc0 label_11E8                                  // 00000000842C: BF84004D
	s_cmp_le_i32 s100, 64                                      // 000000008430: BF05C064
	s_cbranch_scc1 label_119F                                  // 000000008434: BF850007
	s_cmp_le_i32 s100, 0x80                                    // 000000008438: BF05FF64 00000080
	s_cbranch_scc1 label_11B7                                  // 000000008440: BF850017
	s_cmp_lt_i32 s100, 0xc0                                    // 000000008444: BF04FF64 000000C0
	s_cbranch_scc1 label_11CF                                  // 00000000844C: BF85002C
	s_branch label_11E8                                        // 000000008450: BF820044

0000000000008454 <label_119F>:
	s_mov_b32 s60, 0                                           // 000000008454: BEBC0080
	v_and_b32_e32 v28, 15, v0                                  // 000000008458: 2638008F
	v_add_u32_e64 v28, v28, s60                                // 00000000845C: D134001C 0000791C
	v_mul_i32_i24_e64 v29, s46, 16                             // 000000008464: D106001D 0001202E
	v_add_u32_e32 v28, v28, v29                                // 00000000846C: 68383B1C
	v_cmp_lt_u32_e64 s[60:61], v28, s100                       // 000000008470: D0C9003C 0000C91C
	s_nop 1                                                    // 000000008478: BF800001
	v_cndmask_b32_e64 v48, v151, v48, s[60:61]                 // 00000000847C: D1000030 00F26197
	v_cndmask_b32_e64 v49, v151, v49, s[60:61]                 // 000000008484: D1000031 00F26397
	v_cndmask_b32_e64 v50, v151, v50, s[60:61]                 // 00000000848C: D1000032 00F26597
	v_cndmask_b32_e64 v51, v151, v51, s[60:61]                 // 000000008494: D1000033 00F26797
	s_branch label_11CA                                        // 00000000849C: BF820013

00000000000084a0 <label_11B7>:
	s_mov_b32 s60, 64                                          // 0000000084A0: BEBC00C0
	v_and_b32_e32 v28, 15, v0                                  // 0000000084A4: 2638008F
	v_add_u32_e64 v28, v28, s60                                // 0000000084A8: D134001C 0000791C
	v_mul_i32_i24_e64 v29, s46, 16                             // 0000000084B0: D106001D 0001202E
	v_add_u32_e32 v28, v28, v29                                // 0000000084B8: 68383B1C
	v_cmp_lt_u32_e64 s[60:61], v28, s100                       // 0000000084BC: D0C9003C 0000C91C
	s_nop 1                                                    // 0000000084C4: BF800001
	v_cndmask_b32_e64 v52, v151, v52, s[60:61]                 // 0000000084C8: D1000034 00F26997
	v_cndmask_b32_e64 v53, v151, v53, s[60:61]                 // 0000000084D0: D1000035 00F26B97
	v_cndmask_b32_e64 v54, v151, v54, s[60:61]                 // 0000000084D8: D1000036 00F26D97
	v_cndmask_b32_e64 v55, v151, v55, s[60:61]                 // 0000000084E0: D1000037 00F26F97
	s_branch label_11E3                                        // 0000000084E8: BF820019

00000000000084ec <label_11CA>:
	v_mov_b32_e32 v52, v151                                    // 0000000084EC: 7E680397
	v_mov_b32_e32 v53, v151                                    // 0000000084F0: 7E6A0397
	v_mov_b32_e32 v54, v151                                    // 0000000084F4: 7E6C0397
	v_mov_b32_e32 v55, v151                                    // 0000000084F8: 7E6E0397
	s_branch label_11E3                                        // 0000000084FC: BF820014

0000000000008500 <label_11CF>:
	s_mov_b32 s60, 0x80                                        // 000000008500: BEBC00FF 00000080
	v_and_b32_e32 v28, 15, v0                                  // 000000008508: 2638008F
	v_add_u32_e64 v28, v28, s60                                // 00000000850C: D134001C 0000791C
	v_mul_i32_i24_e64 v29, s46, 16                             // 000000008514: D106001D 0001202E
	v_add_u32_e32 v28, v28, v29                                // 00000000851C: 68383B1C
	v_cmp_lt_u32_e64 s[60:61], v28, s100                       // 000000008520: D0C9003C 0000C91C
	s_nop 1                                                    // 000000008528: BF800001
	v_cndmask_b32_e64 v56, v151, v56, s[60:61]                 // 00000000852C: D1000038 00F27197
	v_cndmask_b32_e64 v57, v151, v57, s[60:61]                 // 000000008534: D1000039 00F27397
	v_cndmask_b32_e64 v58, v151, v58, s[60:61]                 // 00000000853C: D100003A 00F27597
	v_cndmask_b32_e64 v59, v151, v59, s[60:61]                 // 000000008544: D100003B 00F27797
	s_branch label_11E8                                        // 00000000854C: BF820005

0000000000008550 <label_11E3>:
	v_mov_b32_e32 v56, v151                                    // 000000008550: 7E700397
	v_mov_b32_e32 v57, v151                                    // 000000008554: 7E720397
	v_mov_b32_e32 v58, v151                                    // 000000008558: 7E740397
	v_mov_b32_e32 v59, v151                                    // 00000000855C: 7E760397
	s_branch label_11E8                                        // 000000008560: BF820000

0000000000008564 <label_11E8>:
	s_addk_i32 s74, 0x1                                        // 000000008564: B74A0001
	s_waitcnt lgkmcnt(8)                                       // 000000008568: BF8CC87F
	s_barrier                                                  // 00000000856C: BF8A0000
	v_mfma_f32_16x16x16_f16 v[72:75], v[92:93], a[96:97], 0    // 000000008570: D3CD0048 1202C15C
	v_fma_f32 v48, v48, s57, -v124                             // 000000008578: D1CB0030 85F07330
	v_fma_f32 v49, v49, s57, -v125                             // 000000008580: D1CB0031 85F47331
	v_fma_f32 v50, v50, s57, -v126                             // 000000008588: D1CB0032 85F87332
	v_mfma_f32_16x16x16_f16 v[72:75], v[94:95], a[98:99], v[72:75]// 000000008590: D3CD0048 1522C55E
	ds_read_b128 a[144:147], v12 offset:4352                   // 000000008598: DBFE1100 9000000C
	ds_read_b128 a[148:151], v12 offset:4864                   // 0000000085A0: DBFE1300 9400000C
	v_mfma_f32_16x16x16_f16 v[72:75], v[96:97], a[100:101], v[72:75]// 0000000085A8: D3CD0048 1522C960
	v_fma_f32 v51, v51, s57, -v127                             // 0000000085B0: D1CB0033 85FC7333
	v_fma_f32 v52, v52, s57, -v124                             // 0000000085B8: D1CB0034 85F07334
	v_fma_f32 v53, v53, s57, -v125                             // 0000000085C0: D1CB0035 85F47335
	v_mfma_f32_16x16x16_f16 v[72:75], v[98:99], a[102:103], v[72:75]// 0000000085C8: D3CD0048 1522CD62
	v_fma_f32 v54, v54, s57, -v126                             // 0000000085D0: D1CB0036 85F87336
	v_fma_f32 v55, v55, s57, -v127                             // 0000000085D8: D1CB0037 85FC7337
	v_fma_f32 v56, v56, s57, -v124                             // 0000000085E0: D1CB0038 85F07338
	v_mfma_f32_16x16x16_f16 v[72:75], v[100:101], a[104:105], v[72:75]// 0000000085E8: D3CD0048 1522D164
	v_fma_f32 v57, v57, s57, -v125                             // 0000000085F0: D1CB0039 85F47339
	v_fma_f32 v58, v58, s57, -v126                             // 0000000085F8: D1CB003A 85F8733A
	v_fma_f32 v59, v59, s57, -v127                             // 000000008600: D1CB003B 85FC733B
	v_mfma_f32_16x16x16_f16 v[72:75], v[102:103], a[106:107], v[72:75]// 000000008608: D3CD0048 1522D566
	ds_read_b128 a[152:155], v12 offset:6528                   // 000000008610: DBFE1980 9800000C
	ds_read_b128 a[156:159], v12 offset:7040                   // 000000008618: DBFE1B80 9C00000C
	v_mfma_f32_16x16x16_f16 v[72:75], v[104:105], a[108:109], v[72:75]// 000000008620: D3CD0048 1522D968
	v_exp_f32_e32 v48, v48                                     // 000000008628: 7E604130
	v_mfma_f32_16x16x16_f16 v[72:75], v[106:107], a[110:111], v[72:75]// 00000000862C: D3CD0048 1522DD6A
	v_exp_f32_e32 v49, v49                                     // 000000008634: 7E624131
	v_mfma_f32_16x16x16_f16 v[76:79], v[92:93], a[112:113], 0  // 000000008638: D3CD004C 1202E15C
	v_exp_f32_e32 v50, v50                                     // 000000008640: 7E644132
	v_mfma_f32_16x16x16_f16 v[76:79], v[94:95], a[114:115], v[76:79]// 000000008644: D3CD004C 1532E55E
	ds_read_b64 v[136:137], v19 offset:24320                   // 00000000864C: D8EC5F00 88000013
	ds_read_b64 v[138:139], v19 offset:26368                   // 000000008654: D8EC6700 8A000013
	v_mfma_f32_16x16x16_f16 v[76:79], v[96:97], a[116:117], v[76:79]// 00000000865C: D3CD004C 1532E960
	v_exp_f32_e32 v51, v51                                     // 000000008664: 7E664133
	v_mfma_f32_16x16x16_f16 v[76:79], v[98:99], a[118:119], v[76:79]// 000000008668: D3CD004C 1532ED62
	ds_read_b64 v[140:141], v19 offset:28416                   // 000000008670: D8EC6F00 8C000013
	ds_read_b64 v[142:143], v19 offset:30464                   // 000000008678: D8EC7700 8E000013
	v_mfma_f32_16x16x16_f16 v[76:79], v[100:101], a[120:121], v[76:79]// 000000008680: D3CD004C 1532F164
	v_exp_f32_e32 v52, v52                                     // 000000008688: 7E684134
	v_mfma_f32_16x16x16_f16 v[76:79], v[102:103], a[122:123], v[76:79]// 00000000868C: D3CD004C 1532F566
	v_exp_f32_e32 v53, v53                                     // 000000008694: 7E6A4135
	v_mfma_f32_16x16x16_f16 v[76:79], v[104:105], a[124:125], v[76:79]// 000000008698: D3CD004C 1532F968
	v_exp_f32_e32 v54, v54                                     // 0000000086A0: 7E6C4136
	v_mfma_f32_16x16x16_f16 v[76:79], v[106:107], a[126:127], v[76:79]// 0000000086A4: D3CD004C 1532FD6A
	v_exp_f32_e32 v55, v55                                     // 0000000086AC: 7E6E4137
	v_mfma_f32_16x16x16_f16 v[80:83], v[92:93], a[128:129], 0  // 0000000086B0: D3CD0050 1203015C
	v_exp_f32_e32 v56, v56                                     // 0000000086B8: 7E704138
	v_mfma_f32_16x16x16_f16 v[80:83], v[94:95], a[130:131], v[80:83]// 0000000086BC: D3CD0050 1543055E
	v_exp_f32_e32 v57, v57                                     // 0000000086C4: 7E724139
	v_mfma_f32_16x16x16_f16 v[80:83], v[96:97], a[132:133], v[80:83]// 0000000086C8: D3CD0050 15430960
	v_exp_f32_e32 v58, v58                                     // 0000000086D0: 7E74413A
	v_mfma_f32_16x16x16_f16 v[80:83], v[98:99], a[134:135], v[80:83]// 0000000086D4: D3CD0050 15430D62
	v_exp_f32_e32 v59, v59                                     // 0000000086DC: 7E76413B
	v_mfma_f32_16x16x16_f16 v[80:83], v[100:101], a[136:137], v[80:83]// 0000000086E0: D3CD0050 15431164
	v_cvt_pkrtz_f16_f32 v144, v48, v49                         // 0000000086E8: D2960090 00026330
	v_cvt_pkrtz_f16_f32 v145, v50, v51                         // 0000000086F0: D2960091 00026732
	v_cvt_pkrtz_f16_f32 v146, v52, v53                         // 0000000086F8: D2960092 00026B34
	v_mfma_f32_16x16x16_f16 v[80:83], v[102:103], a[138:139], v[80:83]// 000000008700: D3CD0050 15431566
	v_cvt_pkrtz_f16_f32 v147, v54, v55                         // 000000008708: D2960093 00026F36
	v_cvt_pkrtz_f16_f32 v148, v56, v57                         // 000000008710: D2960094 00027338
	v_cvt_pkrtz_f16_f32 v149, v58, v59                         // 000000008718: D2960095 0002773A
	v_mfma_f32_16x16x16_f16 v[80:83], v[104:105], a[140:141], v[80:83]// 000000008720: D3CD0050 15431968
	v_add_u32_e32 v7, s66, v7                                  // 000000008728: 680E0E42
	v_add_u32_e32 v8, s66, v8                                  // 00000000872C: 68101042
	v_mfma_f32_16x16x16_f16 v[80:83], v[106:107], a[142:143], v[80:83]// 000000008730: D3CD0050 15431D6A
	s_waitcnt lgkmcnt(0)                                       // 000000008738: BF8CC07F
	s_barrier                                                  // 00000000873C: BF8A0000
	v_mfma_f32_16x16x16_f16 v[152:155], v[108:109], v[144:145], v[152:155]// 000000008740: D3CD0098 0663216C
	v_subrev_f32_dpp v72, v150, v72 quad_perm:[0,0,0,0] row_mask:0xf bank_mask:0xf// 000000008748: 069090FA FF000096
	v_subrev_f32_dpp v73, v150, v73 quad_perm:[1,1,1,1] row_mask:0xf bank_mask:0xf// 000000008750: 069292FA FF005596
	v_subrev_f32_dpp v74, v150, v74 quad_perm:[2,2,2,2] row_mask:0xf bank_mask:0xf// 000000008758: 069494FA FF00AA96
	v_mfma_f32_16x16x16_f16 v[156:159], v[110:111], v[144:145], v[156:159]// 000000008760: D3CD009C 0673216E
	v_subrev_f32_dpp v75, v150, v75 quad_perm:[3,3,3,3] row_mask:0xf bank_mask:0xf// 000000008768: 069696FA FF00FF96
	v_subrev_f32_dpp v76, v150, v76 quad_perm:[0,0,0,0] row_mask:0xf bank_mask:0xf// 000000008770: 069898FA FF000096
	v_subrev_f32_dpp v77, v150, v77 quad_perm:[1,1,1,1] row_mask:0xf bank_mask:0xf// 000000008778: 069A9AFA FF005596
	v_mfma_f32_16x16x16_f16 v[160:163], v[112:113], v[144:145], v[160:163]// 000000008780: D3CD00A0 06832170
	v_mul_f32_e32 v72, v48, v72                                // 000000008788: 0A909130
	v_mul_f32_e32 v73, v49, v73                                // 00000000878C: 0A929331
	v_mul_f32_e32 v74, v50, v74                                // 000000008790: 0A949532
	v_mfma_f32_16x16x16_f16 v[164:167], v[114:115], v[144:145], v[164:167]// 000000008794: D3CD00A4 06932172
	v_mul_f32_e32 v75, v51, v75                                // 00000000879C: 0A969733
	v_mul_f32_e32 v76, v52, v76                                // 0000000087A0: 0A989934
	v_mul_f32_e32 v77, v53, v77                                // 0000000087A4: 0A9A9B35
	v_mfma_f32_16x16x16_f16 v[168:171], v[116:117], v[144:145], v[168:171]// 0000000087A8: D3CD00A8 06A32174
	v_cvt_pkrtz_f16_f32 v72, v72, v73                          // 0000000087B0: D2960048 00029348
	v_cvt_pkrtz_f16_f32 v73, v74, v75                          // 0000000087B8: D2960049 0002974A
	v_cvt_pkrtz_f16_f32 v74, v76, v77                          // 0000000087C0: D296004A 00029B4C
	v_mfma_f32_16x16x16_f16 v[172:175], v[118:119], v[144:145], v[172:175]// 0000000087C8: D3CD00AC 06B32176
	v_mov_b32_dpp v16, v72 quad_perm:[1,0,3,2] row_mask:0xf bank_mask:0xf// 0000000087D0: 7E2002FA FF00B148
	v_perm_b32 v48, v16, v72, v15                              // 0000000087D8: D1ED0030 043E9110
	v_mov_b32_dpp v16, v73 quad_perm:[1,0,3,2] row_mask:0xf bank_mask:0xf// 0000000087E0: 7E2002FA FF00B149
	v_mfma_f32_16x16x16_f16 v[176:179], v[120:121], v[144:145], v[176:179]// 0000000087E8: D3CD00B0 06C32178
	ds_write_b32 v18, v48 offset:17408                         // 0000000087F0: D81A4400 00003012
	v_mfma_f32_16x16x16_f16 v[180:183], v[122:123], v[144:145], v[180:183]// 0000000087F8: D3CD00B4 06D3217A
	v_perm_b32 v49, v16, v73, v15                              // 000000008800: D1ED0031 043E9310
	v_mov_b32_dpp v16, v74 quad_perm:[1,0,3,2] row_mask:0xf bank_mask:0xf// 000000008808: 7E2002FA FF00B14A
	v_perm_b32 v50, v16, v74, v15                              // 000000008810: D1ED0032 043E9510
	v_mfma_f32_16x16x16_f16 v[184:187], v[108:109], v[146:147], v[184:187]// 000000008818: D3CD00B8 06E3256C
	ds_write_b32 v18, v49 offset:17952                         // 000000008820: D81A4620 00003112
	v_mfma_f32_16x16x16_f16 v[188:191], v[110:111], v[146:147], v[188:191]// 000000008828: D3CD00BC 06F3256E
	v_subrev_f32_dpp v78, v150, v78 quad_perm:[2,2,2,2] row_mask:0xf bank_mask:0xf// 000000008830: 069C9CFA FF00AA96
	v_subrev_f32_dpp v79, v150, v79 quad_perm:[3,3,3,3] row_mask:0xf bank_mask:0xf// 000000008838: 069E9EFA FF00FF96
	v_subrev_f32_dpp v80, v150, v80 quad_perm:[0,0,0,0] row_mask:0xf bank_mask:0xf// 000000008840: 06A0A0FA FF000096
	v_mfma_f32_16x16x16_f16 v[192:195], v[112:113], v[146:147], v[192:195]// 000000008848: D3CD00C0 07032570
	ds_write_b32 v18, v50 offset:19712                         // 000000008850: D81A4D00 00003212
	v_mfma_f32_16x16x16_f16 v[196:199], v[114:115], v[146:147], v[196:199]// 000000008858: D3CD00C4 07132572
	v_subrev_f32_dpp v81, v150, v81 quad_perm:[1,1,1,1] row_mask:0xf bank_mask:0xf// 000000008860: 06A2A2FA FF005596
	v_subrev_f32_dpp v82, v150, v82 quad_perm:[2,2,2,2] row_mask:0xf bank_mask:0xf// 000000008868: 06A4A4FA FF00AA96
	v_subrev_f32_dpp v83, v150, v83 quad_perm:[3,3,3,3] row_mask:0xf bank_mask:0xf// 000000008870: 06A6A6FA FF00FF96
	v_mfma_f32_16x16x16_f16 v[200:203], v[116:117], v[146:147], v[200:203]// 000000008878: D3CD00C8 07232574
	v_mul_f32_e32 v78, v54, v78                                // 000000008880: 0A9C9D36
	v_mul_f32_e32 v79, v55, v79                                // 000000008884: 0A9E9F37
	v_mul_f32_e32 v80, v56, v80                                // 000000008888: 0AA0A138
	v_mfma_f32_16x16x16_f16 v[204:207], v[118:119], v[146:147], v[204:207]// 00000000888C: D3CD00CC 07332576
	v_mul_f32_e32 v81, v57, v81                                // 000000008894: 0AA2A339
	v_mul_f32_e32 v82, v58, v82                                // 000000008898: 0AA4A53A
	v_mul_f32_e32 v83, v59, v83                                // 00000000889C: 0AA6A73B
	v_mfma_f32_16x16x16_f16 v[208:211], v[120:121], v[146:147], v[208:211]// 0000000088A0: D3CD00D0 07432578
	v_cvt_pkrtz_f16_f32 v75, v78, v79                          // 0000000088A8: D296004B 00029F4E
	v_cvt_pkrtz_f16_f32 v76, v80, v81                          // 0000000088B0: D296004C 0002A350
	v_cvt_pkrtz_f16_f32 v77, v82, v83                          // 0000000088B8: D296004D 0002A752
	v_mfma_f32_16x16x16_f16 v[212:215], v[122:123], v[146:147], v[212:215]// 0000000088C0: D3CD00D4 0753257A
	v_mov_b32_dpp v16, v75 quad_perm:[1,0,3,2] row_mask:0xf bank_mask:0xf// 0000000088C8: 7E2002FA FF00B14B
	v_perm_b32 v51, v16, v75, v15                              // 0000000088D0: D1ED0033 043E9710
	v_mov_b32_dpp v16, v76 quad_perm:[1,0,3,2] row_mask:0xf bank_mask:0xf// 0000000088D8: 7E2002FA FF00B14C
	v_mfma_f32_16x16x16_f16 v[216:219], v[108:109], v[148:149], v[216:219]// 0000000088E0: D3CD00D8 0763296C
	ds_write_b32 v18, v51 offset:20256                         // 0000000088E8: D81A4F20 00003312
	v_mfma_f32_16x16x16_f16 v[220:223], v[110:111], v[148:149], v[220:223]// 0000000088F0: D3CD00DC 0773296E
	v_perm_b32 v52, v16, v76, v15                              // 0000000088F8: D1ED0034 043E9910
	v_mov_b32_dpp v16, v77 quad_perm:[1,0,3,2] row_mask:0xf bank_mask:0xf// 000000008900: 7E2002FA FF00B14D
	v_perm_b32 v53, v16, v77, v15                              // 000000008908: D1ED0035 043E9B10
	v_mfma_f32_16x16x16_f16 v[224:227], v[112:113], v[148:149], v[224:227]// 000000008910: D3CD00E0 07832970
	ds_write_b32 v18, v52 offset:22016                         // 000000008918: D81A5600 00003412
	ds_write_b32 v18, v53 offset:22560                         // 000000008920: D81A5820 00003512
	v_mfma_f32_16x16x16_f16 v[228:231], v[114:115], v[148:149], v[228:231]// 000000008928: D3CD00E4 07932972
	v_mfma_f32_16x16x16_f16 v[232:235], v[116:117], v[148:149], v[232:235]// 000000008930: D3CD00E8 07A32974
	ds_write_b32 v13, v84 offset:4352                          // 000000008938: D81A1100 0000540D
	ds_write_b32 v13, v85 offset:5408                          // 000000008940: D81A1520 0000550D
	v_mfma_f32_16x16x16_f16 v[236:239], v[118:119], v[148:149], v[236:239]// 000000008948: D3CD00EC 07B32976
	v_mfma_f32_16x16x16_f16 v[240:243], v[120:121], v[148:149], v[240:243]// 000000008950: D3CD00F0 07C32978
	ds_write_b32 v13, v86 offset:4480                          // 000000008958: D81A1180 0000560D
	ds_write_b32 v13, v87 offset:5536                          // 000000008960: D81A15A0 0000570D
	v_mfma_f32_16x16x16_f16 v[244:247], v[122:123], v[148:149], v[244:247]// 000000008968: D3CD00F4 07D3297A
	s_nop 0                                                    // 000000008970: BF800000
	s_nop 0                                                    // 000000008974: BF800000
	s_nop 0                                                    // 000000008978: BF800000
	s_barrier                                                  // 00000000897C: BF8A0000
	v_mfma_f32_16x16x16_f16 a[160:163], a[144:145], v[72:73], a[160:163]// 000000008980: D3CD80A0 0E829190
	ds_read_b32 v124, v21 offset:51200                         // 000000008988: D86CC800 7C000015
	ds_read_b32 v150, v21 offset:51456                         // 000000008990: D86CC900 96000015
	v_mfma_f32_16x16x16_f16 a[164:167], a[146:147], v[72:73], a[164:167]// 000000008998: D3CD80A4 0E929192
	buffer_atomic_add_f32 v136, v7, s[32:35], 0 offen          // 0000000089A0: E1341000 80088807
	v_mfma_f32_16x16x16_f16 a[168:171], a[148:149], v[72:73], a[168:171]// 0000000089A8: D3CD80A8 0EA29194
	s_waitcnt lgkmcnt(6)                                       // 0000000089B0: BF8CC67F
	s_barrier                                                  // 0000000089B4: BF8A0000
	v_mfma_f32_16x16x16_f16 a[172:175], a[150:151], v[72:73], a[172:175]// 0000000089B8: D3CD80AC 0EB29196
	v_mfma_f32_16x16x16_f16 a[176:179], a[152:153], v[72:73], a[176:179]// 0000000089C0: D3CD80B0 0EC29198
	ds_read_b128 v[48:51], v17 offset:17408                    // 0000000089C8: D9FE4400 30000011
	v_mfma_f32_16x16x16_f16 a[180:183], a[154:155], v[72:73], a[180:183]// 0000000089D0: D3CD80B4 0ED2919A
	v_mfma_f32_16x16x16_f16 a[184:187], a[156:157], v[72:73], a[184:187]// 0000000089D8: D3CD80B8 0EE2919C
	ds_read_b128 v[52:55], v17 offset:18560                    // 0000000089E0: D9FE4880 34000011
	v_mfma_f32_16x16x16_f16 a[188:191], a[158:159], v[72:73], a[188:191]// 0000000089E8: D3CD80BC 0EF2919E
	buffer_atomic_add_f32 v137, v8, s[32:35], 0 offen          // 0000000089F0: E1341000 80088908
	v_mfma_f32_16x16x16_f16 a[192:195], a[144:145], v[74:75], a[192:195]// 0000000089F8: D3CD80C0 0F029590
	ds_read_b128 v[56:59], v17 offset:19712                    // 000000008A00: D9FE4D00 38000011
	v_mfma_f32_16x16x16_f16 a[196:199], a[146:147], v[74:75], a[196:199]// 000000008A08: D3CD80C4 0F129592
	v_mfma_f32_16x16x16_f16 a[200:203], a[148:149], v[74:75], a[200:203]// 000000008A10: D3CD80C8 0F229594
	ds_read_b128 v[60:63], v17 offset:20864                    // 000000008A18: D9FE5180 3C000011
	v_mfma_f32_16x16x16_f16 a[204:207], a[150:151], v[74:75], a[204:207]// 000000008A20: D3CD80CC 0F329596
	v_mfma_f32_16x16x16_f16 a[208:211], a[152:153], v[74:75], a[208:211]// 000000008A28: D3CD80D0 0F429598
	ds_read_b128 v[64:67], v17 offset:22016                    // 000000008A30: D9FE5600 40000011
	v_mfma_f32_16x16x16_f16 a[212:215], a[154:155], v[74:75], a[212:215]// 000000008A38: D3CD80D4 0F52959A
	buffer_atomic_add_f32 v138, v7, s[32:35], 0 offen offset:128// 000000008A40: E1341080 80088A07
	v_mfma_f32_16x16x16_f16 a[216:219], a[156:157], v[74:75], a[216:219]// 000000008A48: D3CD80D8 0F62959C
	ds_read_b128 v[68:71], v17 offset:23168                    // 000000008A50: D9FE5A80 44000011
	v_mfma_f32_16x16x16_f16 a[220:223], a[158:159], v[74:75], a[220:223]// 000000008A58: D3CD80DC 0F72959E
	v_mfma_f32_16x16x16_f16 a[224:227], a[144:145], v[76:77], a[224:227]// 000000008A60: D3CD80E0 0F829990
	ds_write_b32 v13, v88 offset:13056                         // 000000008A68: D81A3300 0000580D
	v_mfma_f32_16x16x16_f16 a[228:231], a[146:147], v[76:77], a[228:231]// 000000008A70: D3CD80E4 0F929992
	v_mfma_f32_16x16x16_f16 a[232:235], a[148:149], v[76:77], a[232:235]// 000000008A78: D3CD80E8 0FA29994
	ds_write_b32 v13, v89 offset:14112                         // 000000008A80: D81A3720 0000590D
	v_mfma_f32_16x16x16_f16 a[236:239], a[150:151], v[76:77], a[236:239]// 000000008A88: D3CD80EC 0FB29996
	buffer_atomic_add_f32 v139, v8, s[32:35], 0 offen offset:128// 000000008A90: E1341080 80088B08
	v_mfma_f32_16x16x16_f16 a[240:243], a[152:153], v[76:77], a[240:243]// 000000008A98: D3CD80F0 0FC29998
	ds_write_b32 v13, v90 offset:13184                         // 000000008AA0: D81A3380 00005A0D
	v_mfma_f32_16x16x16_f16 a[244:247], a[154:155], v[76:77], a[244:247]// 000000008AA8: D3CD80F4 0FD2999A
	v_mfma_f32_16x16x16_f16 a[248:251], a[156:157], v[76:77], a[248:251]// 000000008AB0: D3CD80F8 0FE2999C
	ds_write_b32 v13, v91 offset:14240                         // 000000008AB8: D81A37A0 00005B0D
	v_mfma_f32_16x16x16_f16 a[252:255], a[158:159], v[76:77], a[252:255]// 000000008AC0: D3CD80FC 0FF2999E
	s_waitcnt vmcnt(8) lgkmcnt(4)                              // 000000008AC8: BF8C0478
	s_barrier                                                  // 000000008ACC: BF8A0000
	v_mfma_f32_16x16x16_f16 v[128:131], v[48:49], a[48:49], 0  // 000000008AD0: D3CD0080 12026130
	ds_read_b128 a[144:147], v10                               // 000000008AD8: DBFE0000 9000000A
	v_mov_b32_e32 v36, 0                                       // 000000008AE0: 7E480280
	s_mov_b64 exec, s[88:89]                                   // 000000008AE4: BEFE0158
	buffer_load_dword v36, v1, s[8:11], 0 idxen                // 000000008AE8: E0502000 80022401
	s_mov_b32 exec_lo, -1                                      // 000000008AF0: BEFE00C1
	s_mov_b32 exec_hi, -1                                      // 000000008AF4: BEFF00C1
	v_mfma_f32_16x16x16_f16 v[128:131], v[50:51], a[52:53], v[128:131]// 000000008AF8: D3CD0080 16026932
	v_mul_f32_e32 v124, s48, v124                              // 000000008B00: 0AF8F830
	s_nop 0                                                    // 000000008B04: BF800000
	v_mfma_f32_16x16x16_f16 v[128:131], v[52:53], a[56:57], v[128:131]// 000000008B08: D3CD0080 16027134
	ds_read_b128 a[148:151], v10 offset:512                    // 000000008B10: DBFE0200 9400000A
	v_mov_b32_e32 v37, 0                                       // 000000008B18: 7E4A0280
	s_mov_b64 exec, s[88:89]                                   // 000000008B1C: BEFE0158
	buffer_load_dword v37, v2, s[8:11], 0 idxen                // 000000008B20: E0502000 80022502
	s_mov_b32 exec_lo, -1                                      // 000000008B28: BEFE00C1
	s_mov_b32 exec_hi, -1                                      // 000000008B2C: BEFF00C1
	v_mfma_f32_16x16x16_f16 v[128:131], v[54:55], a[60:61], v[128:131]// 000000008B30: D3CD0080 16027936
	v_mfma_f32_16x16x16_f16 v[128:131], v[56:57], a[64:65], v[128:131]// 000000008B38: D3CD0080 16028138
	ds_read_b128 a[152:155], v10 offset:2176                   // 000000008B40: DBFE0880 9800000A
	v_mov_b32_e32 v38, 0                                       // 000000008B48: 7E4C0280
	s_mov_b64 exec, s[88:89]                                   // 000000008B4C: BEFE0158
	buffer_load_dword v38, v3, s[8:11], 0 idxen                // 000000008B50: E0502000 80022603
	s_mov_b32 exec_lo, -1                                      // 000000008B58: BEFE00C1
	s_mov_b32 exec_hi, -1                                      // 000000008B5C: BEFF00C1
	v_mfma_f32_16x16x16_f16 v[128:131], v[58:59], a[68:69], v[128:131]// 000000008B60: D3CD0080 1602893A
	v_perm_b32 v84, v33, v32, s63                              // 000000008B68: D1ED0054 00FE4121
	v_perm_b32 v85, v33, v32, s64                              // 000000008B70: D1ED0055 01024121
	v_mfma_f32_16x16x16_f16 v[128:131], v[60:61], a[72:73], v[128:131]// 000000008B78: D3CD0080 1602913C
	ds_read_b128 a[156:159], v10 offset:2688                   // 000000008B80: DBFE0A80 9C00000A
	v_mov_b32_e32 v39, 0                                       // 000000008B88: 7E4E0280
	s_mov_b64 exec, s[88:89]                                   // 000000008B8C: BEFE0158
	buffer_load_dword v39, v4, s[8:11], 0 idxen                // 000000008B90: E0502000 80022704
	s_mov_b32 exec_lo, -1                                      // 000000008B98: BEFE00C1
	s_mov_b32 exec_hi, -1                                      // 000000008B9C: BEFF00C1
	v_mfma_f32_16x16x16_f16 v[128:131], v[62:63], a[76:77], v[128:131]// 000000008BA0: D3CD0080 1602993E
	v_perm_b32 v86, v35, v34, s63                              // 000000008BA8: D1ED0056 00FE4523
	v_perm_b32 v87, v35, v34, s64                              // 000000008BB0: D1ED0057 01024523
	v_mfma_f32_16x16x16_f16 v[128:131], v[64:65], a[80:81], v[128:131]// 000000008BB8: D3CD0080 1602A140
	ds_read_b128 v[92:95], v10 offset:8704                     // 000000008BC0: D9FE2200 5C00000A
	v_mov_b32_e32 v44, 0                                       // 000000008BC8: 7E580280
	s_mov_b64 exec, s[88:89]                                   // 000000008BCC: BEFE0158
	buffer_load_dword v44, v248, s[20:23], 0 idxen             // 000000008BD0: E0502000 80052CF8
	s_mov_b32 exec_lo, -1                                      // 000000008BD8: BEFE00C1
	s_mov_b32 exec_hi, -1                                      // 000000008BDC: BEFF00C1
	v_mfma_f32_16x16x16_f16 v[128:131], v[66:67], a[84:85], v[128:131]// 000000008BE0: D3CD0080 1602A942
	v_perm_b32 v88, v41, v40, s63                              // 000000008BE8: D1ED0058 00FE5129
	v_perm_b32 v89, v41, v40, s64                              // 000000008BF0: D1ED0059 01025129
	v_mfma_f32_16x16x16_f16 v[128:131], v[68:69], a[88:89], v[128:131]// 000000008BF8: D3CD0080 1602B144
	ds_read_b128 v[96:99], v10 offset:9216                     // 000000008C00: D9FE2400 6000000A
	v_mov_b32_e32 v45, 0                                       // 000000008C08: 7E5A0280
	s_mov_b64 exec, s[88:89]                                   // 000000008C0C: BEFE0158
	buffer_load_dword v45, v249, s[20:23], 0 idxen             // 000000008C10: E0502000 80052DF9
	s_mov_b32 exec_lo, -1                                      // 000000008C18: BEFE00C1
	s_mov_b32 exec_hi, -1                                      // 000000008C1C: BEFF00C1
	v_mfma_f32_16x16x16_f16 v[128:131], v[70:71], a[92:93], v[128:131]// 000000008C20: D3CD0080 1602B946
	v_perm_b32 v90, v43, v42, s63                              // 000000008C28: D1ED005A 00FE552B
	v_perm_b32 v91, v43, v42, s64                              // 000000008C30: D1ED005B 0102552B
	v_mfma_f32_16x16x16_f16 v[132:135], v[48:49], a[50:51], 0  // 000000008C38: D3CD0084 12026530
	ds_read_b128 v[100:103], v10 offset:10880                  // 000000008C40: D9FE2A80 6400000A
	v_mov_b32_e32 v46, 0                                       // 000000008C48: 7E5C0280
	s_mov_b64 exec, s[88:89]                                   // 000000008C4C: BEFE0158
	buffer_load_dword v46, v250, s[20:23], 0 idxen             // 000000008C50: E0502000 80052EFA
	s_mov_b32 exec_lo, -1                                      // 000000008C58: BEFE00C1
	s_mov_b32 exec_hi, -1                                      // 000000008C5C: BEFF00C1
	v_mfma_f32_16x16x16_f16 v[132:135], v[50:51], a[54:55], v[132:135]// 000000008C60: D3CD0084 16126D32
	v_mov_b32_dpp v127, v124 quad_perm:[3,3,3,3] row_mask:0xf bank_mask:0xf// 000000008C68: 7EFE02FA FF00FF7C
	v_mov_b32_dpp v126, v124 quad_perm:[2,2,2,2] row_mask:0xf bank_mask:0xf// 000000008C70: 7EFC02FA FF00AA7C
	v_mfma_f32_16x16x16_f16 v[132:135], v[52:53], a[58:59], v[132:135]// 000000008C78: D3CD0084 16127534
	ds_read_b128 v[104:107], v10 offset:11392                  // 000000008C80: D9FE2C80 6800000A
	v_mov_b32_e32 v47, 0                                       // 000000008C88: 7E5E0280
	s_mov_b64 exec, s[88:89]                                   // 000000008C8C: BEFE0158
	buffer_load_dword v47, v251, s[20:23], 0 idxen             // 000000008C90: E0502000 80052FFB
	s_mov_b32 exec_lo, -1                                      // 000000008C98: BEFE00C1
	s_mov_b32 exec_hi, -1                                      // 000000008C9C: BEFF00C1
	v_mfma_f32_16x16x16_f16 v[132:135], v[54:55], a[62:63], v[132:135]// 000000008CA0: D3CD0084 16127D36
	v_mov_b32_dpp v125, v124 quad_perm:[1,1,1,1] row_mask:0xf bank_mask:0xf// 000000008CA8: 7EFA02FA FF00557C
	v_mov_b32_dpp v124, v124 quad_perm:[0,0,0,0] row_mask:0xf bank_mask:0xf// 000000008CB0: 7EF802FA FF00007C
	s_add_u32 s60, 64, s59                                     // 000000008CB8: 803C3BC0
	v_mfma_f32_16x16x16_f16 v[132:135], v[56:57], a[66:67], v[132:135]// 000000008CBC: D3CD0084 16128538
	buffer_load_dword v9, s[24:27], 0 idxen lds                // 000000008CC4: E0512000 80060009
	v_mfma_f32_16x16x16_f16 v[132:135], v[58:59], a[70:71], v[132:135]// 000000008CCC: D3CD0084 16128D3A
	s_cmp_lt_u32 s60, s58                                      // 000000008CD4: BF0A3A3C
	s_cselect_b32 s68, s68, 0                                  // 000000008CD8: 85448044
	s_cselect_b32 s99, s99, 0                                  // 000000008CDC: 85638063
	s_cselect_b32 s69, s69, 0                                  // 000000008CE0: 85458045
	v_mfma_f32_16x16x16_f16 v[132:135], v[60:61], a[74:75], v[132:135]// 000000008CE4: D3CD0084 1612953C
	v_add_u32_e32 v1, s68, v1                                  // 000000008CEC: 68020244
	v_add_u32_e32 v2, s68, v2                                  // 000000008CF0: 68040444
	v_add_u32_e32 v3, s68, v3                                  // 000000008CF4: 68060644
	v_add_u32_e32 v4, s68, v4                                  // 000000008CF8: 68080844
	v_mfma_f32_16x16x16_f16 v[132:135], v[62:63], a[78:79], v[132:135]// 000000008CFC: D3CD0084 16129D3E
	v_add_u32_e32 v248, s99, v248                              // 000000008D04: 69F1F063
	v_add_u32_e32 v249, s99, v249                              // 000000008D08: 69F3F263
	v_add_u32_e32 v250, s99, v250                              // 000000008D0C: 69F5F463
	v_add_u32_e32 v251, s99, v251                              // 000000008D10: 69F7F663
	v_mfma_f32_16x16x16_f16 v[132:135], v[64:65], a[82:83], v[132:135]// 000000008D14: D3CD0084 1612A540
	s_mov_b32 m0, s78                                          // 000000008D1C: BEFC004E
	v_add_u32_e32 v9, s69, v9                                  // 000000008D20: 68121245
	v_mfma_f32_16x16x16_f16 v[132:135], v[66:67], a[86:87], v[132:135]// 000000008D24: D3CD0084 1612AD42
	s_cmp_ge_u32 s59, s73                                      // 000000008D2C: BF09493B
	s_cselect_b32 s66, s67, s66                                // 000000008D30: 85424243
	v_mfma_f32_16x16x16_f16 v[132:135], v[68:69], a[90:91], v[132:135]// 000000008D34: D3CD0084 1612B544
	s_addk_i32 s59, 0x10                                       // 000000008D3C: B73B0010
	s_nop 0                                                    // 000000008D40: BF800000
	s_cmp_lt_i32 s59, s58                                      // 000000008D44: BF043A3B
	v_mfma_f32_16x16x16_f16 v[132:135], v[70:71], a[94:95], v[132:135]// 000000008D48: D3CD0084 1612BD46
	s_cbranch_scc0 label_10B3                                  // 000000008D50: BF84FCD4
	s_waitcnt lgkmcnt(0)                                       // 000000008D54: BF8CC07F
	s_barrier                                                  // 000000008D58: BF8A0000
	v_mfma_f32_16x16x16_f16 v[48:51], a[144:145], a[0:1], 0    // 000000008D5C: D3CD0030 1A020190
	v_mul_f32_e32 v128, s47, v128                              // 000000008D64: 0B01002F
	v_mul_f32_e32 v129, s47, v129                              // 000000008D68: 0B03022F
	v_mfma_f32_16x16x16_f16 v[48:51], a[146:147], a[2:3], v[48:51]// 000000008D6C: D3CD0030 1CC20592
	ds_write_b32 v11, v40 offset:8704                          // 000000008D74: D81A2200 0000280B
	ds_write_b32 v11, v41 offset:9760                          // 000000008D7C: D81A2620 0000290B
	v_mfma_f32_16x16x16_f16 v[48:51], a[148:149], a[4:5], v[48:51]// 000000008D84: D3CD0030 1CC20994
	v_mul_f32_e32 v130, s47, v130                              // 000000008D8C: 0B05042F
	v_mul_f32_e32 v131, s47, v131                              // 000000008D90: 0B07062F
	v_mfma_f32_16x16x16_f16 v[48:51], a[150:151], a[6:7], v[48:51]// 000000008D94: D3CD0030 1CC20D96
	ds_write_b32 v11, v42 offset:8832                          // 000000008D9C: D81A2280 00002A0B
	ds_write_b32 v11, v43 offset:9888                          // 000000008DA4: D81A26A0 00002B0B
	v_mfma_f32_16x16x16_f16 v[48:51], a[152:153], a[8:9], v[48:51]// 000000008DAC: D3CD0030 1CC21198
	v_mul_f32_e32 v132, s47, v132                              // 000000008DB4: 0B09082F
	v_mul_f32_e32 v133, s47, v133                              // 000000008DB8: 0B0B0A2F
	v_mfma_f32_16x16x16_f16 v[48:51], a[154:155], a[10:11], v[48:51]// 000000008DBC: D3CD0030 1CC2159A
	ds_write_b64 v20, v[128:129] offset:24320                  // 000000008DC4: D89A5F00 00008014
	v_mfma_f32_16x16x16_f16 v[48:51], a[156:157], a[12:13], v[48:51]// 000000008DCC: D3CD0030 1CC2199C
	v_mul_f32_e32 v134, s47, v134                              // 000000008DD4: 0B0D0C2F
	v_mul_f32_e32 v135, s47, v135                              // 000000008DD8: 0B0F0E2F
	v_mfma_f32_16x16x16_f16 v[48:51], a[158:159], a[14:15], v[48:51]// 000000008DDC: D3CD0030 1CC21D9E
	ds_write_b64 v20, v[130:131] offset:24832                  // 000000008DE4: D89A6100 00008214
	v_mfma_f32_16x16x16_f16 v[52:55], a[144:145], a[16:17], 0  // 000000008DEC: D3CD0034 1A022190
	buffer_atomic_add_f32 v140, v7, s[32:35], 0 offen offset:256// 000000008DF4: E1341100 80088C07
	v_mfma_f32_16x16x16_f16 v[52:55], a[146:147], a[18:19], v[52:55]// 000000008DFC: D3CD0034 1CD22592
	ds_write_b64 v20, v[132:133] offset:25344                  // 000000008E04: D89A6300 00008414
	v_mfma_f32_16x16x16_f16 v[52:55], a[148:149], a[20:21], v[52:55]// 000000008E0C: D3CD0034 1CD22994
	v_mfma_f32_16x16x16_f16 v[52:55], a[150:151], a[22:23], v[52:55]// 000000008E14: D3CD0034 1CD22D96
	ds_write_b64 v20, v[134:135] offset:25856                  // 000000008E1C: D89A6500 00008614
	v_mfma_f32_16x16x16_f16 v[52:55], a[152:153], a[24:25], v[52:55]// 000000008E24: D3CD0034 1CD23198
	buffer_atomic_add_f32 v141, v8, s[32:35], 0 offen offset:256// 000000008E2C: E1341100 80088D08
	v_mfma_f32_16x16x16_f16 v[52:55], a[154:155], a[26:27], v[52:55]// 000000008E34: D3CD0034 1CD2359A
	ds_read_b128 v[108:111], v12 offset:13056                  // 000000008E3C: D9FE3300 6C00000C
	ds_write_b32 v11, v32                                      // 000000008E44: D81A0000 0000200B
	v_mfma_f32_16x16x16_f16 v[52:55], a[156:157], a[28:29], v[52:55]// 000000008E4C: D3CD0034 1CD2399C
	v_mfma_f32_16x16x16_f16 v[52:55], a[158:159], a[30:31], v[52:55]// 000000008E54: D3CD0034 1CD23D9E
	v_mfma_f32_16x16x16_f16 v[56:59], a[144:145], a[32:33], 0  // 000000008E5C: D3CD0038 1A024190
	ds_read_b128 v[112:115], v12 offset:13568                  // 000000008E64: D9FE3500 7000000C
	ds_write_b32 v11, v33 offset:1056                          // 000000008E6C: D81A0420 0000210B
	v_mfma_f32_16x16x16_f16 v[56:59], a[146:147], a[34:35], v[56:59]// 000000008E74: D3CD0038 1CE24592
	buffer_atomic_add_f32 v142, v7, s[32:35], 0 offen offset:384// 000000008E7C: E1341180 80088E07
	v_mfma_f32_16x16x16_f16 v[56:59], a[148:149], a[36:37], v[56:59]// 000000008E84: D3CD0038 1CE24994
	v_mfma_f32_16x16x16_f16 v[56:59], a[150:151], a[38:39], v[56:59]// 000000008E8C: D3CD0038 1CE24D96
	ds_read_b128 v[116:119], v12 offset:15232                  // 000000008E94: D9FE3B80 7400000C
	ds_write_b32 v11, v34 offset:128                           // 000000008E9C: D81A0080 0000220B
	v_mfma_f32_16x16x16_f16 v[56:59], a[152:153], a[40:41], v[56:59]// 000000008EA4: D3CD0038 1CE25198
	v_mfma_f32_16x16x16_f16 v[56:59], a[154:155], a[42:43], v[56:59]// 000000008EAC: D3CD0038 1CE2559A
	buffer_atomic_add_f32 v143, v8, s[32:35], 0 offen offset:384// 000000008EB4: E1341180 80088F08
	v_mfma_f32_16x16x16_f16 v[56:59], a[156:157], a[44:45], v[56:59]// 000000008EBC: D3CD0038 1CE2599C
	ds_read_b128 v[120:123], v12 offset:15744                  // 000000008EC4: D9FE3D80 7800000C
	ds_write_b32 v11, v35 offset:1184                          // 000000008ECC: D81A04A0 0000230B
	v_mfma_f32_16x16x16_f16 v[56:59], a[158:159], a[46:47], v[56:59]// 000000008ED4: D3CD0038 1CE25D9E
	s_cmp_lt_i32 s74, 12                                       // 000000008EDC: BF048C4A
	s_cbranch_scc0 label_14BD                                  // 000000008EE0: BF840075
	s_mov_b32 s60, 0xffe0fffe                                  // 000000008EE4: BEBC00FF FFE0FFFE
	s_mov_b32 s61, 0xe000fe00                                  // 000000008EEC: BEBD00FF E000FE00
	s_nop 0                                                    // 000000008EF4: BF800000
	s_add_u32 s62, 0, s46                                      // 000000008EF8: 803E2E80
	s_cmp_lt_i32 s74, s62                                      // 000000008EFC: BF043E4A
	s_cbranch_scc1 label_1478                                  // 000000008F00: BF850028
	s_cmp_eq_i32 s74, s62                                      // 000000008F04: BF003E4A
	s_cbranch_scc1 label_145D                                  // 000000008F08: BF85000B
	s_add_u32 s62, 4, s46                                      // 000000008F0C: 803E2E84
	s_cmp_lt_i32 s74, s62                                      // 000000008F10: BF043E4A
	s_cbranch_scc1 label_1498                                  // 000000008F14: BF850043
	s_cmp_eq_i32 s74, s62                                      // 000000008F18: BF003E4A
	s_cbranch_scc1 label_147D                                  // 000000008F1C: BF850026
	s_add_u32 s62, 8, s46                                      // 000000008F20: 803E2E88
	s_cmp_lt_i32 s74, s62                                      // 000000008F24: BF043E4A
	s_cbranch_scc1 label_14B8                                  // 000000008F28: BF85005E
	s_cmp_eq_i32 s74, s62                                      // 000000008F2C: BF003E4A
	s_cbranch_scc1 label_149D                                  // 000000008F30: BF850041
	s_branch label_14BD                                        // 000000008F34: BF820060

0000000000008f38 <label_145D>:
	v_cndmask_b32_e64 v48, v48, v151, s[60:61]                 // 000000008F38: D1000030 00F32F30
	s_lshl_b32 s60, s60, 1                                     // 000000008F40: 8E3C813C
	s_lshl_b32 s61, s61, 1                                     // 000000008F44: 8E3D813D
	s_and_b32 s60, 0xfffeffff, s60                             // 000000008F48: 863C3CFF FFFEFFFF
	s_and_b32 s61, 0xfffeffff, s61                             // 000000008F50: 863D3DFF FFFEFFFF
	v_cndmask_b32_e64 v49, v49, v151, s[60:61]                 // 000000008F58: D1000031 00F32F31
	s_lshl_b32 s60, s60, 1                                     // 000000008F60: 8E3C813C
	s_lshl_b32 s61, s61, 1                                     // 000000008F64: 8E3D813D
	s_and_b32 s60, 0xfffeffff, s60                             // 000000008F68: 863C3CFF FFFEFFFF
	s_and_b32 s61, 0xfffeffff, s61                             // 000000008F70: 863D3DFF FFFEFFFF
	v_cndmask_b32_e64 v50, v50, v151, s[60:61]                 // 000000008F78: D1000032 00F32F32
	s_lshl_b32 s60, s60, 1                                     // 000000008F80: 8E3C813C
	s_lshl_b32 s61, s61, 1                                     // 000000008F84: 8E3D813D
	s_and_b32 s60, 0xfffeffff, s60                             // 000000008F88: 863C3CFF FFFEFFFF
	s_and_b32 s61, 0xfffeffff, s61                             // 000000008F90: 863D3DFF FFFEFFFF
	v_cndmask_b32_e64 v51, v51, v151, s[60:61]                 // 000000008F98: D1000033 00F32F33
	s_branch label_1498                                        // 000000008FA0: BF820020

0000000000008fa4 <label_1478>:
	v_mov_b32_e32 v48, v151                                    // 000000008FA4: 7E600397
	v_mov_b32_e32 v49, v151                                    // 000000008FA8: 7E620397
	v_mov_b32_e32 v50, v151                                    // 000000008FAC: 7E640397
	v_mov_b32_e32 v51, v151                                    // 000000008FB0: 7E660397
	s_branch label_1498                                        // 000000008FB4: BF82001B

0000000000008fb8 <label_147D>:
	v_cndmask_b32_e64 v52, v52, v151, s[60:61]                 // 000000008FB8: D1000034 00F32F34
	s_lshl_b32 s60, s60, 1                                     // 000000008FC0: 8E3C813C
	s_lshl_b32 s61, s61, 1                                     // 000000008FC4: 8E3D813D
	s_and_b32 s60, 0xfffeffff, s60                             // 000000008FC8: 863C3CFF FFFEFFFF
	s_and_b32 s61, 0xfffeffff, s61                             // 000000008FD0: 863D3DFF FFFEFFFF
	v_cndmask_b32_e64 v53, v53, v151, s[60:61]                 // 000000008FD8: D1000035 00F32F35
	s_lshl_b32 s60, s60, 1                                     // 000000008FE0: 8E3C813C
	s_lshl_b32 s61, s61, 1                                     // 000000008FE4: 8E3D813D
	s_and_b32 s60, 0xfffeffff, s60                             // 000000008FE8: 863C3CFF FFFEFFFF
	s_and_b32 s61, 0xfffeffff, s61                             // 000000008FF0: 863D3DFF FFFEFFFF
	v_cndmask_b32_e64 v54, v54, v151, s[60:61]                 // 000000008FF8: D1000036 00F32F36
	s_lshl_b32 s60, s60, 1                                     // 000000009000: 8E3C813C
	s_lshl_b32 s61, s61, 1                                     // 000000009004: 8E3D813D
	s_and_b32 s60, 0xfffeffff, s60                             // 000000009008: 863C3CFF FFFEFFFF
	s_and_b32 s61, 0xfffeffff, s61                             // 000000009010: 863D3DFF FFFEFFFF
	v_cndmask_b32_e64 v55, v55, v151, s[60:61]                 // 000000009018: D1000037 00F32F37
	s_branch label_14B8                                        // 000000009020: BF820020

0000000000009024 <label_1498>:
	v_mov_b32_e32 v52, v151                                    // 000000009024: 7E680397
	v_mov_b32_e32 v53, v151                                    // 000000009028: 7E6A0397
	v_mov_b32_e32 v54, v151                                    // 00000000902C: 7E6C0397
	v_mov_b32_e32 v55, v151                                    // 000000009030: 7E6E0397
	s_branch label_14B8                                        // 000000009034: BF82001B

0000000000009038 <label_149D>:
	v_cndmask_b32_e64 v56, v56, v151, s[60:61]                 // 000000009038: D1000038 00F32F38
	s_lshl_b32 s60, s60, 1                                     // 000000009040: 8E3C813C
	s_lshl_b32 s61, s61, 1                                     // 000000009044: 8E3D813D
	s_and_b32 s60, 0xfffeffff, s60                             // 000000009048: 863C3CFF FFFEFFFF
	s_and_b32 s61, 0xfffeffff, s61                             // 000000009050: 863D3DFF FFFEFFFF
	v_cndmask_b32_e64 v57, v57, v151, s[60:61]                 // 000000009058: D1000039 00F32F39
	s_lshl_b32 s60, s60, 1                                     // 000000009060: 8E3C813C
	s_lshl_b32 s61, s61, 1                                     // 000000009064: 8E3D813D
	s_and_b32 s60, 0xfffeffff, s60                             // 000000009068: 863C3CFF FFFEFFFF
	s_and_b32 s61, 0xfffeffff, s61                             // 000000009070: 863D3DFF FFFEFFFF
	v_cndmask_b32_e64 v58, v58, v151, s[60:61]                 // 000000009078: D100003A 00F32F3A
	s_lshl_b32 s60, s60, 1                                     // 000000009080: 8E3C813C
	s_lshl_b32 s61, s61, 1                                     // 000000009084: 8E3D813D
	s_and_b32 s60, 0xfffeffff, s60                             // 000000009088: 863C3CFF FFFEFFFF
	s_and_b32 s61, 0xfffeffff, s61                             // 000000009090: 863D3DFF FFFEFFFF
	v_cndmask_b32_e64 v59, v59, v151, s[60:61]                 // 000000009098: D100003B 00F32F3B
	s_branch label_14BD                                        // 0000000090A0: BF820005

00000000000090a4 <label_14B8>:
	v_mov_b32_e32 v56, v151                                    // 0000000090A4: 7E700397
	v_mov_b32_e32 v57, v151                                    // 0000000090A8: 7E720397
	v_mov_b32_e32 v58, v151                                    // 0000000090AC: 7E740397
	v_mov_b32_e32 v59, v151                                    // 0000000090B0: 7E760397
	s_branch label_14BD                                        // 0000000090B4: BF820000

00000000000090b8 <label_14BD>:
	s_cmp_lt_i32 s100, 0xc0                                    // 0000000090B8: BF04FF64 000000C0
	s_cbranch_scc0 label_1512                                  // 0000000090C0: BF84004D
	s_cmp_le_i32 s100, 64                                      // 0000000090C4: BF05C064
	s_cbranch_scc1 label_14C9                                  // 0000000090C8: BF850007
	s_cmp_le_i32 s100, 0x80                                    // 0000000090CC: BF05FF64 00000080
	s_cbranch_scc1 label_14E1                                  // 0000000090D4: BF850017
	s_cmp_lt_i32 s100, 0xc0                                    // 0000000090D8: BF04FF64 000000C0
	s_cbranch_scc1 label_14F9                                  // 0000000090E0: BF85002C
	s_branch label_1512                                        // 0000000090E4: BF820044

00000000000090e8 <label_14C9>:
	s_mov_b32 s60, 0                                           // 0000000090E8: BEBC0080
	v_and_b32_e32 v28, 15, v0                                  // 0000000090EC: 2638008F
	v_add_u32_e64 v28, v28, s60                                // 0000000090F0: D134001C 0000791C
	v_mul_i32_i24_e64 v29, s46, 16                             // 0000000090F8: D106001D 0001202E
	v_add_u32_e32 v28, v28, v29                                // 000000009100: 68383B1C
	v_cmp_lt_u32_e64 s[60:61], v28, s100                       // 000000009104: D0C9003C 0000C91C
	s_nop 1                                                    // 00000000910C: BF800001
	v_cndmask_b32_e64 v48, v151, v48, s[60:61]                 // 000000009110: D1000030 00F26197
	v_cndmask_b32_e64 v49, v151, v49, s[60:61]                 // 000000009118: D1000031 00F26397
	v_cndmask_b32_e64 v50, v151, v50, s[60:61]                 // 000000009120: D1000032 00F26597
	v_cndmask_b32_e64 v51, v151, v51, s[60:61]                 // 000000009128: D1000033 00F26797
	s_branch label_14F4                                        // 000000009130: BF820013

0000000000009134 <label_14E1>:
	s_mov_b32 s60, 64                                          // 000000009134: BEBC00C0
	v_and_b32_e32 v28, 15, v0                                  // 000000009138: 2638008F
	v_add_u32_e64 v28, v28, s60                                // 00000000913C: D134001C 0000791C
	v_mul_i32_i24_e64 v29, s46, 16                             // 000000009144: D106001D 0001202E
	v_add_u32_e32 v28, v28, v29                                // 00000000914C: 68383B1C
	v_cmp_lt_u32_e64 s[60:61], v28, s100                       // 000000009150: D0C9003C 0000C91C
	s_nop 1                                                    // 000000009158: BF800001
	v_cndmask_b32_e64 v52, v151, v52, s[60:61]                 // 00000000915C: D1000034 00F26997
	v_cndmask_b32_e64 v53, v151, v53, s[60:61]                 // 000000009164: D1000035 00F26B97
	v_cndmask_b32_e64 v54, v151, v54, s[60:61]                 // 00000000916C: D1000036 00F26D97
	v_cndmask_b32_e64 v55, v151, v55, s[60:61]                 // 000000009174: D1000037 00F26F97
	s_branch label_150D                                        // 00000000917C: BF820019

0000000000009180 <label_14F4>:
	v_mov_b32_e32 v52, v151                                    // 000000009180: 7E680397
	v_mov_b32_e32 v53, v151                                    // 000000009184: 7E6A0397
	v_mov_b32_e32 v54, v151                                    // 000000009188: 7E6C0397
	v_mov_b32_e32 v55, v151                                    // 00000000918C: 7E6E0397
	s_branch label_150D                                        // 000000009190: BF820014

0000000000009194 <label_14F9>:
	s_mov_b32 s60, 0x80                                        // 000000009194: BEBC00FF 00000080
	v_and_b32_e32 v28, 15, v0                                  // 00000000919C: 2638008F
	v_add_u32_e64 v28, v28, s60                                // 0000000091A0: D134001C 0000791C
	v_mul_i32_i24_e64 v29, s46, 16                             // 0000000091A8: D106001D 0001202E
	v_add_u32_e32 v28, v28, v29                                // 0000000091B0: 68383B1C
	v_cmp_lt_u32_e64 s[60:61], v28, s100                       // 0000000091B4: D0C9003C 0000C91C
	s_nop 1                                                    // 0000000091BC: BF800001
	v_cndmask_b32_e64 v56, v151, v56, s[60:61]                 // 0000000091C0: D1000038 00F27197
	v_cndmask_b32_e64 v57, v151, v57, s[60:61]                 // 0000000091C8: D1000039 00F27397
	v_cndmask_b32_e64 v58, v151, v58, s[60:61]                 // 0000000091D0: D100003A 00F27597
	v_cndmask_b32_e64 v59, v151, v59, s[60:61]                 // 0000000091D8: D100003B 00F27797
	s_branch label_1512                                        // 0000000091E0: BF820005

00000000000091e4 <label_150D>:
	v_mov_b32_e32 v56, v151                                    // 0000000091E4: 7E700397
	v_mov_b32_e32 v57, v151                                    // 0000000091E8: 7E720397
	v_mov_b32_e32 v58, v151                                    // 0000000091EC: 7E740397
	v_mov_b32_e32 v59, v151                                    // 0000000091F0: 7E760397
	s_branch label_1512                                        // 0000000091F4: BF820000

00000000000091f8 <label_1512>:
	s_addk_i32 s74, 0x1                                        // 0000000091F8: B74A0001
	s_waitcnt lgkmcnt(8)                                       // 0000000091FC: BF8CC87F
	s_barrier                                                  // 000000009200: BF8A0000
	v_mfma_f32_16x16x16_f16 v[72:75], v[92:93], a[96:97], 0    // 000000009204: D3CD0048 1202C15C
	v_fma_f32 v48, v48, s57, -v124                             // 00000000920C: D1CB0030 85F07330
	v_fma_f32 v49, v49, s57, -v125                             // 000000009214: D1CB0031 85F47331
	v_fma_f32 v50, v50, s57, -v126                             // 00000000921C: D1CB0032 85F87332
	v_mfma_f32_16x16x16_f16 v[72:75], v[94:95], a[98:99], v[72:75]// 000000009224: D3CD0048 1522C55E
	ds_read_b128 a[144:147], v12 offset:4352                   // 00000000922C: DBFE1100 9000000C
	ds_read_b128 a[148:151], v12 offset:4864                   // 000000009234: DBFE1300 9400000C
	v_mfma_f32_16x16x16_f16 v[72:75], v[96:97], a[100:101], v[72:75]// 00000000923C: D3CD0048 1522C960
	v_fma_f32 v51, v51, s57, -v127                             // 000000009244: D1CB0033 85FC7333
	v_fma_f32 v52, v52, s57, -v124                             // 00000000924C: D1CB0034 85F07334
	v_fma_f32 v53, v53, s57, -v125                             // 000000009254: D1CB0035 85F47335
	v_mfma_f32_16x16x16_f16 v[72:75], v[98:99], a[102:103], v[72:75]// 00000000925C: D3CD0048 1522CD62
	v_fma_f32 v54, v54, s57, -v126                             // 000000009264: D1CB0036 85F87336
	v_fma_f32 v55, v55, s57, -v127                             // 00000000926C: D1CB0037 85FC7337
	v_fma_f32 v56, v56, s57, -v124                             // 000000009274: D1CB0038 85F07338
	v_mfma_f32_16x16x16_f16 v[72:75], v[100:101], a[104:105], v[72:75]// 00000000927C: D3CD0048 1522D164
	v_fma_f32 v57, v57, s57, -v125                             // 000000009284: D1CB0039 85F47339
	v_fma_f32 v58, v58, s57, -v126                             // 00000000928C: D1CB003A 85F8733A
	v_fma_f32 v59, v59, s57, -v127                             // 000000009294: D1CB003B 85FC733B
	v_mfma_f32_16x16x16_f16 v[72:75], v[102:103], a[106:107], v[72:75]// 00000000929C: D3CD0048 1522D566
	ds_read_b128 a[152:155], v12 offset:6528                   // 0000000092A4: DBFE1980 9800000C
	ds_read_b128 a[156:159], v12 offset:7040                   // 0000000092AC: DBFE1B80 9C00000C
	v_mfma_f32_16x16x16_f16 v[72:75], v[104:105], a[108:109], v[72:75]// 0000000092B4: D3CD0048 1522D968
	v_exp_f32_e32 v48, v48                                     // 0000000092BC: 7E604130
	v_mfma_f32_16x16x16_f16 v[72:75], v[106:107], a[110:111], v[72:75]// 0000000092C0: D3CD0048 1522DD6A
	v_exp_f32_e32 v49, v49                                     // 0000000092C8: 7E624131
	v_mfma_f32_16x16x16_f16 v[76:79], v[92:93], a[112:113], 0  // 0000000092CC: D3CD004C 1202E15C
	v_exp_f32_e32 v50, v50                                     // 0000000092D4: 7E644132
	v_mfma_f32_16x16x16_f16 v[76:79], v[94:95], a[114:115], v[76:79]// 0000000092D8: D3CD004C 1532E55E
	ds_read_b64 v[136:137], v19 offset:24320                   // 0000000092E0: D8EC5F00 88000013
	ds_read_b64 v[138:139], v19 offset:26368                   // 0000000092E8: D8EC6700 8A000013
	v_mfma_f32_16x16x16_f16 v[76:79], v[96:97], a[116:117], v[76:79]// 0000000092F0: D3CD004C 1532E960
	v_exp_f32_e32 v51, v51                                     // 0000000092F8: 7E664133
	v_mfma_f32_16x16x16_f16 v[76:79], v[98:99], a[118:119], v[76:79]// 0000000092FC: D3CD004C 1532ED62
	ds_read_b64 v[140:141], v19 offset:28416                   // 000000009304: D8EC6F00 8C000013
	ds_read_b64 v[142:143], v19 offset:30464                   // 00000000930C: D8EC7700 8E000013
	v_mfma_f32_16x16x16_f16 v[76:79], v[100:101], a[120:121], v[76:79]// 000000009314: D3CD004C 1532F164
	v_exp_f32_e32 v52, v52                                     // 00000000931C: 7E684134
	v_mfma_f32_16x16x16_f16 v[76:79], v[102:103], a[122:123], v[76:79]// 000000009320: D3CD004C 1532F566
	v_exp_f32_e32 v53, v53                                     // 000000009328: 7E6A4135
	v_mfma_f32_16x16x16_f16 v[76:79], v[104:105], a[124:125], v[76:79]// 00000000932C: D3CD004C 1532F968
	v_exp_f32_e32 v54, v54                                     // 000000009334: 7E6C4136
	v_mfma_f32_16x16x16_f16 v[76:79], v[106:107], a[126:127], v[76:79]// 000000009338: D3CD004C 1532FD6A
	v_exp_f32_e32 v55, v55                                     // 000000009340: 7E6E4137
	v_mfma_f32_16x16x16_f16 v[80:83], v[92:93], a[128:129], 0  // 000000009344: D3CD0050 1203015C
	v_exp_f32_e32 v56, v56                                     // 00000000934C: 7E704138
	v_mfma_f32_16x16x16_f16 v[80:83], v[94:95], a[130:131], v[80:83]// 000000009350: D3CD0050 1543055E
	v_exp_f32_e32 v57, v57                                     // 000000009358: 7E724139
	v_mfma_f32_16x16x16_f16 v[80:83], v[96:97], a[132:133], v[80:83]// 00000000935C: D3CD0050 15430960
	v_exp_f32_e32 v58, v58                                     // 000000009364: 7E74413A
	v_mfma_f32_16x16x16_f16 v[80:83], v[98:99], a[134:135], v[80:83]// 000000009368: D3CD0050 15430D62
	v_exp_f32_e32 v59, v59                                     // 000000009370: 7E76413B
	v_mfma_f32_16x16x16_f16 v[80:83], v[100:101], a[136:137], v[80:83]// 000000009374: D3CD0050 15431164
	v_cvt_pkrtz_f16_f32 v144, v48, v49                         // 00000000937C: D2960090 00026330
	v_cvt_pkrtz_f16_f32 v145, v50, v51                         // 000000009384: D2960091 00026732
	v_cvt_pkrtz_f16_f32 v146, v52, v53                         // 00000000938C: D2960092 00026B34
	v_mfma_f32_16x16x16_f16 v[80:83], v[102:103], a[138:139], v[80:83]// 000000009394: D3CD0050 15431566
	v_cvt_pkrtz_f16_f32 v147, v54, v55                         // 00000000939C: D2960093 00026F36
	v_cvt_pkrtz_f16_f32 v148, v56, v57                         // 0000000093A4: D2960094 00027338
	v_cvt_pkrtz_f16_f32 v149, v58, v59                         // 0000000093AC: D2960095 0002773A
	v_mfma_f32_16x16x16_f16 v[80:83], v[104:105], a[140:141], v[80:83]// 0000000093B4: D3CD0050 15431968
	v_add_u32_e32 v7, s66, v7                                  // 0000000093BC: 680E0E42
	v_add_u32_e32 v8, s66, v8                                  // 0000000093C0: 68101042
	v_mfma_f32_16x16x16_f16 v[80:83], v[106:107], a[142:143], v[80:83]// 0000000093C4: D3CD0050 15431D6A
	s_waitcnt lgkmcnt(0)                                       // 0000000093CC: BF8CC07F
	s_barrier                                                  // 0000000093D0: BF8A0000
	v_mfma_f32_16x16x16_f16 v[152:155], v[108:109], v[144:145], v[152:155]// 0000000093D4: D3CD0098 0663216C
	v_subrev_f32_dpp v72, v150, v72 quad_perm:[0,0,0,0] row_mask:0xf bank_mask:0xf// 0000000093DC: 069090FA FF000096
	v_subrev_f32_dpp v73, v150, v73 quad_perm:[1,1,1,1] row_mask:0xf bank_mask:0xf// 0000000093E4: 069292FA FF005596
	v_subrev_f32_dpp v74, v150, v74 quad_perm:[2,2,2,2] row_mask:0xf bank_mask:0xf// 0000000093EC: 069494FA FF00AA96
	v_mfma_f32_16x16x16_f16 v[156:159], v[110:111], v[144:145], v[156:159]// 0000000093F4: D3CD009C 0673216E
	v_subrev_f32_dpp v75, v150, v75 quad_perm:[3,3,3,3] row_mask:0xf bank_mask:0xf// 0000000093FC: 069696FA FF00FF96
	v_subrev_f32_dpp v76, v150, v76 quad_perm:[0,0,0,0] row_mask:0xf bank_mask:0xf// 000000009404: 069898FA FF000096
	v_subrev_f32_dpp v77, v150, v77 quad_perm:[1,1,1,1] row_mask:0xf bank_mask:0xf// 00000000940C: 069A9AFA FF005596
	v_mfma_f32_16x16x16_f16 v[160:163], v[112:113], v[144:145], v[160:163]// 000000009414: D3CD00A0 06832170
	v_mul_f32_e32 v72, v48, v72                                // 00000000941C: 0A909130
	v_mul_f32_e32 v73, v49, v73                                // 000000009420: 0A929331
	v_mul_f32_e32 v74, v50, v74                                // 000000009424: 0A949532
	v_mfma_f32_16x16x16_f16 v[164:167], v[114:115], v[144:145], v[164:167]// 000000009428: D3CD00A4 06932172
	v_mul_f32_e32 v75, v51, v75                                // 000000009430: 0A969733
	v_mul_f32_e32 v76, v52, v76                                // 000000009434: 0A989934
	v_mul_f32_e32 v77, v53, v77                                // 000000009438: 0A9A9B35
	v_mfma_f32_16x16x16_f16 v[168:171], v[116:117], v[144:145], v[168:171]// 00000000943C: D3CD00A8 06A32174
	v_cvt_pkrtz_f16_f32 v72, v72, v73                          // 000000009444: D2960048 00029348
	v_cvt_pkrtz_f16_f32 v73, v74, v75                          // 00000000944C: D2960049 0002974A
	v_cvt_pkrtz_f16_f32 v74, v76, v77                          // 000000009454: D296004A 00029B4C
	v_mfma_f32_16x16x16_f16 v[172:175], v[118:119], v[144:145], v[172:175]// 00000000945C: D3CD00AC 06B32176
	v_mov_b32_dpp v16, v72 quad_perm:[1,0,3,2] row_mask:0xf bank_mask:0xf// 000000009464: 7E2002FA FF00B148
	v_perm_b32 v48, v16, v72, v15                              // 00000000946C: D1ED0030 043E9110
	v_mov_b32_dpp v16, v73 quad_perm:[1,0,3,2] row_mask:0xf bank_mask:0xf// 000000009474: 7E2002FA FF00B149
	v_mfma_f32_16x16x16_f16 v[176:179], v[120:121], v[144:145], v[176:179]// 00000000947C: D3CD00B0 06C32178
	ds_write_b32 v18, v48 offset:17408                         // 000000009484: D81A4400 00003012
	v_mfma_f32_16x16x16_f16 v[180:183], v[122:123], v[144:145], v[180:183]// 00000000948C: D3CD00B4 06D3217A
	v_perm_b32 v49, v16, v73, v15                              // 000000009494: D1ED0031 043E9310
	v_mov_b32_dpp v16, v74 quad_perm:[1,0,3,2] row_mask:0xf bank_mask:0xf// 00000000949C: 7E2002FA FF00B14A
	v_perm_b32 v50, v16, v74, v15                              // 0000000094A4: D1ED0032 043E9510
	v_mfma_f32_16x16x16_f16 v[184:187], v[108:109], v[146:147], v[184:187]// 0000000094AC: D3CD00B8 06E3256C
	ds_write_b32 v18, v49 offset:17952                         // 0000000094B4: D81A4620 00003112
	v_mfma_f32_16x16x16_f16 v[188:191], v[110:111], v[146:147], v[188:191]// 0000000094BC: D3CD00BC 06F3256E
	v_subrev_f32_dpp v78, v150, v78 quad_perm:[2,2,2,2] row_mask:0xf bank_mask:0xf// 0000000094C4: 069C9CFA FF00AA96
	v_subrev_f32_dpp v79, v150, v79 quad_perm:[3,3,3,3] row_mask:0xf bank_mask:0xf// 0000000094CC: 069E9EFA FF00FF96
	v_subrev_f32_dpp v80, v150, v80 quad_perm:[0,0,0,0] row_mask:0xf bank_mask:0xf// 0000000094D4: 06A0A0FA FF000096
	v_mfma_f32_16x16x16_f16 v[192:195], v[112:113], v[146:147], v[192:195]// 0000000094DC: D3CD00C0 07032570
	ds_write_b32 v18, v50 offset:19712                         // 0000000094E4: D81A4D00 00003212
	v_mfma_f32_16x16x16_f16 v[196:199], v[114:115], v[146:147], v[196:199]// 0000000094EC: D3CD00C4 07132572
	v_subrev_f32_dpp v81, v150, v81 quad_perm:[1,1,1,1] row_mask:0xf bank_mask:0xf// 0000000094F4: 06A2A2FA FF005596
	v_subrev_f32_dpp v82, v150, v82 quad_perm:[2,2,2,2] row_mask:0xf bank_mask:0xf// 0000000094FC: 06A4A4FA FF00AA96
	v_subrev_f32_dpp v83, v150, v83 quad_perm:[3,3,3,3] row_mask:0xf bank_mask:0xf// 000000009504: 06A6A6FA FF00FF96
	v_mfma_f32_16x16x16_f16 v[200:203], v[116:117], v[146:147], v[200:203]// 00000000950C: D3CD00C8 07232574
	v_mul_f32_e32 v78, v54, v78                                // 000000009514: 0A9C9D36
	v_mul_f32_e32 v79, v55, v79                                // 000000009518: 0A9E9F37
	v_mul_f32_e32 v80, v56, v80                                // 00000000951C: 0AA0A138
	v_mfma_f32_16x16x16_f16 v[204:207], v[118:119], v[146:147], v[204:207]// 000000009520: D3CD00CC 07332576
	v_mul_f32_e32 v81, v57, v81                                // 000000009528: 0AA2A339
	v_mul_f32_e32 v82, v58, v82                                // 00000000952C: 0AA4A53A
	v_mul_f32_e32 v83, v59, v83                                // 000000009530: 0AA6A73B
	v_mfma_f32_16x16x16_f16 v[208:211], v[120:121], v[146:147], v[208:211]// 000000009534: D3CD00D0 07432578
	v_cvt_pkrtz_f16_f32 v75, v78, v79                          // 00000000953C: D296004B 00029F4E
	v_cvt_pkrtz_f16_f32 v76, v80, v81                          // 000000009544: D296004C 0002A350
	v_cvt_pkrtz_f16_f32 v77, v82, v83                          // 00000000954C: D296004D 0002A752
	v_mfma_f32_16x16x16_f16 v[212:215], v[122:123], v[146:147], v[212:215]// 000000009554: D3CD00D4 0753257A
	v_mov_b32_dpp v16, v75 quad_perm:[1,0,3,2] row_mask:0xf bank_mask:0xf// 00000000955C: 7E2002FA FF00B14B
	v_perm_b32 v51, v16, v75, v15                              // 000000009564: D1ED0033 043E9710
	v_mov_b32_dpp v16, v76 quad_perm:[1,0,3,2] row_mask:0xf bank_mask:0xf// 00000000956C: 7E2002FA FF00B14C
	v_mfma_f32_16x16x16_f16 v[216:219], v[108:109], v[148:149], v[216:219]// 000000009574: D3CD00D8 0763296C
	ds_write_b32 v18, v51 offset:20256                         // 00000000957C: D81A4F20 00003312
	v_mfma_f32_16x16x16_f16 v[220:223], v[110:111], v[148:149], v[220:223]// 000000009584: D3CD00DC 0773296E
	v_perm_b32 v52, v16, v76, v15                              // 00000000958C: D1ED0034 043E9910
	v_mov_b32_dpp v16, v77 quad_perm:[1,0,3,2] row_mask:0xf bank_mask:0xf// 000000009594: 7E2002FA FF00B14D
	v_perm_b32 v53, v16, v77, v15                              // 00000000959C: D1ED0035 043E9B10
	v_mfma_f32_16x16x16_f16 v[224:227], v[112:113], v[148:149], v[224:227]// 0000000095A4: D3CD00E0 07832970
	ds_write_b32 v18, v52 offset:22016                         // 0000000095AC: D81A5600 00003412
	ds_write_b32 v18, v53 offset:22560                         // 0000000095B4: D81A5820 00003512
	v_mfma_f32_16x16x16_f16 v[228:231], v[114:115], v[148:149], v[228:231]// 0000000095BC: D3CD00E4 07932972
	v_mfma_f32_16x16x16_f16 v[232:235], v[116:117], v[148:149], v[232:235]// 0000000095C4: D3CD00E8 07A32974
	ds_write_b32 v13, v84 offset:4352                          // 0000000095CC: D81A1100 0000540D
	ds_write_b32 v13, v85 offset:5408                          // 0000000095D4: D81A1520 0000550D
	v_mfma_f32_16x16x16_f16 v[236:239], v[118:119], v[148:149], v[236:239]// 0000000095DC: D3CD00EC 07B32976
	v_mfma_f32_16x16x16_f16 v[240:243], v[120:121], v[148:149], v[240:243]// 0000000095E4: D3CD00F0 07C32978
	ds_write_b32 v13, v86 offset:4480                          // 0000000095EC: D81A1180 0000560D
	ds_write_b32 v13, v87 offset:5536                          // 0000000095F4: D81A15A0 0000570D
	v_mfma_f32_16x16x16_f16 v[244:247], v[122:123], v[148:149], v[244:247]// 0000000095FC: D3CD00F4 07D3297A
	s_nop 0                                                    // 000000009604: BF800000
	s_nop 0                                                    // 000000009608: BF800000
	s_nop 0                                                    // 00000000960C: BF800000
	s_barrier                                                  // 000000009610: BF8A0000
	v_mfma_f32_16x16x16_f16 a[160:163], a[144:145], v[72:73], a[160:163]// 000000009614: D3CD80A0 0E829190
	ds_read_b32 v124, v21 offset:50688                         // 00000000961C: D86CC600 7C000015
	ds_read_b32 v150, v21 offset:50944                         // 000000009624: D86CC700 96000015
	v_mfma_f32_16x16x16_f16 a[164:167], a[146:147], v[72:73], a[164:167]// 00000000962C: D3CD80A4 0E929192
	buffer_atomic_add_f32 v136, v7, s[32:35], 0 offen          // 000000009634: E1341000 80088807
	v_mfma_f32_16x16x16_f16 a[168:171], a[148:149], v[72:73], a[168:171]// 00000000963C: D3CD80A8 0EA29194
	s_waitcnt lgkmcnt(6)                                       // 000000009644: BF8CC67F
	s_barrier                                                  // 000000009648: BF8A0000
	v_mfma_f32_16x16x16_f16 a[172:175], a[150:151], v[72:73], a[172:175]// 00000000964C: D3CD80AC 0EB29196
	v_mfma_f32_16x16x16_f16 a[176:179], a[152:153], v[72:73], a[176:179]// 000000009654: D3CD80B0 0EC29198
	ds_read_b128 v[48:51], v17 offset:17408                    // 00000000965C: D9FE4400 30000011
	v_mfma_f32_16x16x16_f16 a[180:183], a[154:155], v[72:73], a[180:183]// 000000009664: D3CD80B4 0ED2919A
	v_mfma_f32_16x16x16_f16 a[184:187], a[156:157], v[72:73], a[184:187]// 00000000966C: D3CD80B8 0EE2919C
	ds_read_b128 v[52:55], v17 offset:18560                    // 000000009674: D9FE4880 34000011
	v_mfma_f32_16x16x16_f16 a[188:191], a[158:159], v[72:73], a[188:191]// 00000000967C: D3CD80BC 0EF2919E
	buffer_atomic_add_f32 v137, v8, s[32:35], 0 offen          // 000000009684: E1341000 80088908
	v_mfma_f32_16x16x16_f16 a[192:195], a[144:145], v[74:75], a[192:195]// 00000000968C: D3CD80C0 0F029590
	ds_read_b128 v[56:59], v17 offset:19712                    // 000000009694: D9FE4D00 38000011
	v_mfma_f32_16x16x16_f16 a[196:199], a[146:147], v[74:75], a[196:199]// 00000000969C: D3CD80C4 0F129592
	v_mfma_f32_16x16x16_f16 a[200:203], a[148:149], v[74:75], a[200:203]// 0000000096A4: D3CD80C8 0F229594
	ds_read_b128 v[60:63], v17 offset:20864                    // 0000000096AC: D9FE5180 3C000011
	v_mfma_f32_16x16x16_f16 a[204:207], a[150:151], v[74:75], a[204:207]// 0000000096B4: D3CD80CC 0F329596
	v_mfma_f32_16x16x16_f16 a[208:211], a[152:153], v[74:75], a[208:211]// 0000000096BC: D3CD80D0 0F429598
	ds_read_b128 v[64:67], v17 offset:22016                    // 0000000096C4: D9FE5600 40000011
	v_mfma_f32_16x16x16_f16 a[212:215], a[154:155], v[74:75], a[212:215]// 0000000096CC: D3CD80D4 0F52959A
	buffer_atomic_add_f32 v138, v7, s[32:35], 0 offen offset:128// 0000000096D4: E1341080 80088A07
	v_mfma_f32_16x16x16_f16 a[216:219], a[156:157], v[74:75], a[216:219]// 0000000096DC: D3CD80D8 0F62959C
	ds_read_b128 v[68:71], v17 offset:23168                    // 0000000096E4: D9FE5A80 44000011
	v_mfma_f32_16x16x16_f16 a[220:223], a[158:159], v[74:75], a[220:223]// 0000000096EC: D3CD80DC 0F72959E
	v_mfma_f32_16x16x16_f16 a[224:227], a[144:145], v[76:77], a[224:227]// 0000000096F4: D3CD80E0 0F829990
	ds_write_b32 v13, v88 offset:13056                         // 0000000096FC: D81A3300 0000580D
	v_mfma_f32_16x16x16_f16 a[228:231], a[146:147], v[76:77], a[228:231]// 000000009704: D3CD80E4 0F929992
	v_mfma_f32_16x16x16_f16 a[232:235], a[148:149], v[76:77], a[232:235]// 00000000970C: D3CD80E8 0FA29994
	ds_write_b32 v13, v89 offset:14112                         // 000000009714: D81A3720 0000590D
	v_mfma_f32_16x16x16_f16 a[236:239], a[150:151], v[76:77], a[236:239]// 00000000971C: D3CD80EC 0FB29996
	buffer_atomic_add_f32 v139, v8, s[32:35], 0 offen offset:128// 000000009724: E1341080 80088B08
	v_mfma_f32_16x16x16_f16 a[240:243], a[152:153], v[76:77], a[240:243]// 00000000972C: D3CD80F0 0FC29998
	ds_write_b32 v13, v90 offset:13184                         // 000000009734: D81A3380 00005A0D
	v_mfma_f32_16x16x16_f16 a[244:247], a[154:155], v[76:77], a[244:247]// 00000000973C: D3CD80F4 0FD2999A
	v_mfma_f32_16x16x16_f16 a[248:251], a[156:157], v[76:77], a[248:251]// 000000009744: D3CD80F8 0FE2999C
	ds_write_b32 v13, v91 offset:14240                         // 00000000974C: D81A37A0 00005B0D
	v_mfma_f32_16x16x16_f16 a[252:255], a[158:159], v[76:77], a[252:255]// 000000009754: D3CD80FC 0FF2999E
	s_waitcnt vmcnt(8) lgkmcnt(4)                              // 00000000975C: BF8C0478
	s_barrier                                                  // 000000009760: BF8A0000
	v_mfma_f32_16x16x16_f16 v[128:131], v[48:49], a[48:49], 0  // 000000009764: D3CD0080 12026130
	ds_read_b128 a[144:147], v10                               // 00000000976C: DBFE0000 9000000A
	v_mov_b32_e32 v32, 0                                       // 000000009774: 7E400280
	s_mov_b64 exec, s[88:89]                                   // 000000009778: BEFE0158
	buffer_load_dword v32, v1, s[8:11], 0 idxen                // 00000000977C: E0502000 80022001
	s_mov_b32 exec_lo, -1                                      // 000000009784: BEFE00C1
	s_mov_b32 exec_hi, -1                                      // 000000009788: BEFF00C1
	v_mfma_f32_16x16x16_f16 v[128:131], v[50:51], a[52:53], v[128:131]// 00000000978C: D3CD0080 16026932
	v_mul_f32_e32 v124, s48, v124                              // 000000009794: 0AF8F830
	s_nop 0                                                    // 000000009798: BF800000
	v_mfma_f32_16x16x16_f16 v[128:131], v[52:53], a[56:57], v[128:131]// 00000000979C: D3CD0080 16027134
	ds_read_b128 a[148:151], v10 offset:512                    // 0000000097A4: DBFE0200 9400000A
	v_mov_b32_e32 v33, 0                                       // 0000000097AC: 7E420280
	s_mov_b64 exec, s[88:89]                                   // 0000000097B0: BEFE0158
	buffer_load_dword v33, v2, s[8:11], 0 idxen                // 0000000097B4: E0502000 80022102
	s_mov_b32 exec_lo, -1                                      // 0000000097BC: BEFE00C1
	s_mov_b32 exec_hi, -1                                      // 0000000097C0: BEFF00C1
	v_mfma_f32_16x16x16_f16 v[128:131], v[54:55], a[60:61], v[128:131]// 0000000097C4: D3CD0080 16027936
	v_mfma_f32_16x16x16_f16 v[128:131], v[56:57], a[64:65], v[128:131]// 0000000097CC: D3CD0080 16028138
	ds_read_b128 a[152:155], v10 offset:2176                   // 0000000097D4: DBFE0880 9800000A
	v_mov_b32_e32 v34, 0                                       // 0000000097DC: 7E440280
	s_mov_b64 exec, s[88:89]                                   // 0000000097E0: BEFE0158
	buffer_load_dword v34, v3, s[8:11], 0 idxen                // 0000000097E4: E0502000 80022203
	s_mov_b32 exec_lo, -1                                      // 0000000097EC: BEFE00C1
	s_mov_b32 exec_hi, -1                                      // 0000000097F0: BEFF00C1
	v_mfma_f32_16x16x16_f16 v[128:131], v[58:59], a[68:69], v[128:131]// 0000000097F4: D3CD0080 1602893A
	v_perm_b32 v84, v37, v36, s63                              // 0000000097FC: D1ED0054 00FE4925
	v_perm_b32 v85, v37, v36, s64                              // 000000009804: D1ED0055 01024925
	v_mfma_f32_16x16x16_f16 v[128:131], v[60:61], a[72:73], v[128:131]// 00000000980C: D3CD0080 1602913C
	ds_read_b128 a[156:159], v10 offset:2688                   // 000000009814: DBFE0A80 9C00000A
	v_mov_b32_e32 v35, 0                                       // 00000000981C: 7E460280
	s_mov_b64 exec, s[88:89]                                   // 000000009820: BEFE0158
	buffer_load_dword v35, v4, s[8:11], 0 idxen                // 000000009824: E0502000 80022304
	s_mov_b32 exec_lo, -1                                      // 00000000982C: BEFE00C1
	s_mov_b32 exec_hi, -1                                      // 000000009830: BEFF00C1
	v_mfma_f32_16x16x16_f16 v[128:131], v[62:63], a[76:77], v[128:131]// 000000009834: D3CD0080 1602993E
	v_perm_b32 v86, v39, v38, s63                              // 00000000983C: D1ED0056 00FE4D27
	v_perm_b32 v87, v39, v38, s64                              // 000000009844: D1ED0057 01024D27
	v_mfma_f32_16x16x16_f16 v[128:131], v[64:65], a[80:81], v[128:131]// 00000000984C: D3CD0080 1602A140
	ds_read_b128 v[92:95], v10 offset:8704                     // 000000009854: D9FE2200 5C00000A
	v_mov_b32_e32 v40, 0                                       // 00000000985C: 7E500280
	s_mov_b64 exec, s[88:89]                                   // 000000009860: BEFE0158
	buffer_load_dword v40, v248, s[20:23], 0 idxen             // 000000009864: E0502000 800528F8
	s_mov_b32 exec_lo, -1                                      // 00000000986C: BEFE00C1
	s_mov_b32 exec_hi, -1                                      // 000000009870: BEFF00C1
	v_mfma_f32_16x16x16_f16 v[128:131], v[66:67], a[84:85], v[128:131]// 000000009874: D3CD0080 1602A942
	v_perm_b32 v88, v45, v44, s63                              // 00000000987C: D1ED0058 00FE592D
	v_perm_b32 v89, v45, v44, s64                              // 000000009884: D1ED0059 0102592D
	v_mfma_f32_16x16x16_f16 v[128:131], v[68:69], a[88:89], v[128:131]// 00000000988C: D3CD0080 1602B144
	ds_read_b128 v[96:99], v10 offset:9216                     // 000000009894: D9FE2400 6000000A
	v_mov_b32_e32 v41, 0                                       // 00000000989C: 7E520280
	s_mov_b64 exec, s[88:89]                                   // 0000000098A0: BEFE0158
	buffer_load_dword v41, v249, s[20:23], 0 idxen             // 0000000098A4: E0502000 800529F9
	s_mov_b32 exec_lo, -1                                      // 0000000098AC: BEFE00C1
	s_mov_b32 exec_hi, -1                                      // 0000000098B0: BEFF00C1
	v_mfma_f32_16x16x16_f16 v[128:131], v[70:71], a[92:93], v[128:131]// 0000000098B4: D3CD0080 1602B946
	v_perm_b32 v90, v47, v46, s63                              // 0000000098BC: D1ED005A 00FE5D2F
	v_perm_b32 v91, v47, v46, s64                              // 0000000098C4: D1ED005B 01025D2F
	v_mfma_f32_16x16x16_f16 v[132:135], v[48:49], a[50:51], 0  // 0000000098CC: D3CD0084 12026530
	ds_read_b128 v[100:103], v10 offset:10880                  // 0000000098D4: D9FE2A80 6400000A
	v_mov_b32_e32 v42, 0                                       // 0000000098DC: 7E540280
	s_mov_b64 exec, s[88:89]                                   // 0000000098E0: BEFE0158
	buffer_load_dword v42, v250, s[20:23], 0 idxen             // 0000000098E4: E0502000 80052AFA
	s_mov_b32 exec_lo, -1                                      // 0000000098EC: BEFE00C1
	s_mov_b32 exec_hi, -1                                      // 0000000098F0: BEFF00C1
	v_mfma_f32_16x16x16_f16 v[132:135], v[50:51], a[54:55], v[132:135]// 0000000098F4: D3CD0084 16126D32
	v_mov_b32_dpp v127, v124 quad_perm:[3,3,3,3] row_mask:0xf bank_mask:0xf// 0000000098FC: 7EFE02FA FF00FF7C
	v_mov_b32_dpp v126, v124 quad_perm:[2,2,2,2] row_mask:0xf bank_mask:0xf// 000000009904: 7EFC02FA FF00AA7C
	v_mfma_f32_16x16x16_f16 v[132:135], v[52:53], a[58:59], v[132:135]// 00000000990C: D3CD0084 16127534
	ds_read_b128 v[104:107], v10 offset:11392                  // 000000009914: D9FE2C80 6800000A
	v_mov_b32_e32 v43, 0                                       // 00000000991C: 7E560280
	s_mov_b64 exec, s[88:89]                                   // 000000009920: BEFE0158
	buffer_load_dword v43, v251, s[20:23], 0 idxen             // 000000009924: E0502000 80052BFB
	s_mov_b32 exec_lo, -1                                      // 00000000992C: BEFE00C1
	s_mov_b32 exec_hi, -1                                      // 000000009930: BEFF00C1
	v_mfma_f32_16x16x16_f16 v[132:135], v[54:55], a[62:63], v[132:135]// 000000009934: D3CD0084 16127D36
	v_mov_b32_dpp v125, v124 quad_perm:[1,1,1,1] row_mask:0xf bank_mask:0xf// 00000000993C: 7EFA02FA FF00557C
	v_mov_b32_dpp v124, v124 quad_perm:[0,0,0,0] row_mask:0xf bank_mask:0xf// 000000009944: 7EF802FA FF00007C
	s_add_u32 s60, 64, s59                                     // 00000000994C: 803C3BC0
	v_mfma_f32_16x16x16_f16 v[132:135], v[56:57], a[66:67], v[132:135]// 000000009950: D3CD0084 16128538
	buffer_load_dword v9, s[24:27], 0 idxen lds                // 000000009958: E0512000 80060009
	v_mfma_f32_16x16x16_f16 v[132:135], v[58:59], a[70:71], v[132:135]// 000000009960: D3CD0084 16128D3A
	s_cmp_lt_u32 s60, s58                                      // 000000009968: BF0A3A3C
	s_cselect_b32 s68, s68, 0                                  // 00000000996C: 85448044
	s_cselect_b32 s99, s99, 0                                  // 000000009970: 85638063
	s_cselect_b32 s69, s69, 0                                  // 000000009974: 85458045
	v_mfma_f32_16x16x16_f16 v[132:135], v[60:61], a[74:75], v[132:135]// 000000009978: D3CD0084 1612953C
	v_add_u32_e32 v1, s68, v1                                  // 000000009980: 68020244
	v_add_u32_e32 v2, s68, v2                                  // 000000009984: 68040444
	;; [unrolled: 1-line block ×3, first 2 shown]
	v_add_u32_e32 v4, s68, v4                                  // 00000000998C: 68080844
	v_mfma_f32_16x16x16_f16 v[132:135], v[62:63], a[78:79], v[132:135]// 000000009990: D3CD0084 16129D3E
	v_add_u32_e32 v248, s99, v248                              // 000000009998: 69F1F063
	v_add_u32_e32 v249, s99, v249                              // 00000000999C: 69F3F263
	v_add_u32_e32 v250, s99, v250                              // 0000000099A0: 69F5F463
	v_add_u32_e32 v251, s99, v251                              // 0000000099A4: 69F7F663
	v_mfma_f32_16x16x16_f16 v[132:135], v[64:65], a[82:83], v[132:135]// 0000000099A8: D3CD0084 1612A540
	s_mov_b32 m0, s79                                          // 0000000099B0: BEFC004F
	v_add_u32_e32 v9, s69, v9                                  // 0000000099B4: 68121245
	v_mfma_f32_16x16x16_f16 v[132:135], v[66:67], a[86:87], v[132:135]// 0000000099B8: D3CD0084 1612AD42
	s_cmp_ge_u32 s59, s73                                      // 0000000099C0: BF09493B
	s_cselect_b32 s66, s67, s66                                // 0000000099C4: 85424243
	v_mfma_f32_16x16x16_f16 v[132:135], v[68:69], a[90:91], v[132:135]// 0000000099C8: D3CD0084 1612B544
	s_addk_i32 s59, 0x10                                       // 0000000099D0: B73B0010
	s_nop 0                                                    // 0000000099D4: BF800000
	s_cmp_lt_i32 s59, s58                                      // 0000000099D8: BF043A3B
	v_mfma_f32_16x16x16_f16 v[132:135], v[70:71], a[94:95], v[132:135]// 0000000099DC: D3CD0084 1612BD46
	s_cbranch_scc0 label_10B3                                  // 0000000099E4: BF84F9AF
	s_branch label_10BA                                        // 0000000099E8: BF82F9B5

00000000000099ec <label_170F>:
	buffer_atomic_add_f32 v140, v7, s[32:35], 0 offen offset:256// 0000000099EC: E1341100 80088C07
	buffer_atomic_add_f32 v141, v8, s[32:35], 0 offen offset:256// 0000000099F4: E1341100 80088D08
	buffer_atomic_add_f32 v142, v7, s[32:35], 0 offen offset:384// 0000000099FC: E1341180 80088E07
	buffer_atomic_add_f32 v143, v8, s[32:35], 0 offen offset:384// 000000009A04: E1341180 80088F08
	v_add_u32_e32 v7, s66, v7                                  // 000000009A0C: 680E0E42
	v_add_u32_e32 v8, s66, v8                                  // 000000009A10: 68101042
	v_lshrrev_b32_e32 v28, 5, v0                               // 000000009A14: 20380085
	v_mul_i32_i24_e32 v25, 0x42, v28                           // 000000009A18: 0C3238FF 00000042
	v_and_b32_e32 v28, 31, v0                                  // 000000009A20: 2638009F
	v_mul_i32_i24_e32 v29, 2, v28                              // 000000009A24: 0C3A3882
	v_add_u32_e32 v25, v29, v25                                // 000000009A28: 6832331D
	s_mul_i32 s60, s46, 0x420                                  // 000000009A2C: 923CFF2E 00000420
	v_add_u32_e32 v25, s60, v25                                // 000000009A34: 6832323C
	v_lshlrev_b32_e32 v25, 2, v25                              // 000000009A38: 24323282
	v_mul_f32_e32 v128, s47, v128                              // 000000009A3C: 0B01002F
	v_mul_f32_e32 v129, s47, v129                              // 000000009A40: 0B03022F
	v_mul_f32_e32 v130, s47, v130                              // 000000009A44: 0B05042F
	v_mul_f32_e32 v131, s47, v131                              // 000000009A48: 0B07062F
	v_mul_f32_e32 v132, s47, v132                              // 000000009A4C: 0B09082F
	v_mul_f32_e32 v133, s47, v133                              // 000000009A50: 0B0B0A2F
	v_mul_f32_e32 v134, s47, v134                              // 000000009A54: 0B0D0C2F
	v_mul_f32_e32 v135, s47, v135                              // 000000009A58: 0B0F0E2F
	ds_write_b64 v20, v[128:129] offset:24320                  // 000000009A5C: D89A5F00 00008014
	ds_write_b64 v20, v[130:131] offset:24832                  // 000000009A64: D89A6100 00008214
	ds_write_b64 v20, v[132:133] offset:25344                  // 000000009A6C: D89A6300 00008414
	ds_write_b64 v20, v[134:135] offset:25856                  // 000000009A74: D89A6500 00008614
	s_waitcnt lgkmcnt(0)                                       // 000000009A7C: BF8CC07F
	s_barrier                                                  // 000000009A80: BF8A0000
	ds_read_b64 v[136:137], v19 offset:24320                   // 000000009A84: D8EC5F00 88000013
	ds_read_b64 v[138:139], v19 offset:26368                   // 000000009A8C: D8EC6700 8A000013
	ds_read_b64 v[140:141], v19 offset:28416                   // 000000009A94: D8EC6F00 8C000013
	ds_read_b64 v[142:143], v19 offset:30464                   // 000000009A9C: D8EC7700 8E000013
	s_waitcnt lgkmcnt(0)                                       // 000000009AA4: BF8CC07F
	s_barrier                                                  // 000000009AA8: BF8A0000
	buffer_atomic_add_f32 v136, v7, s[32:35], 0 offen          // 000000009AAC: E1341000 80088807
	buffer_atomic_add_f32 v137, v8, s[32:35], 0 offen          // 000000009AB4: E1341000 80088908
	buffer_atomic_add_f32 v138, v7, s[32:35], 0 offen offset:128// 000000009ABC: E1341080 80088A07
	buffer_atomic_add_f32 v139, v8, s[32:35], 0 offen offset:128// 000000009AC4: E1341080 80088B08
	buffer_atomic_add_f32 v140, v7, s[32:35], 0 offen offset:256// 000000009ACC: E1341100 80088C07
	buffer_atomic_add_f32 v141, v8, s[32:35], 0 offen offset:256// 000000009AD4: E1341100 80088D08
	buffer_atomic_add_f32 v142, v7, s[32:35], 0 offen offset:384// 000000009ADC: E1341180 80088E07
	buffer_atomic_add_f32 v143, v8, s[32:35], 0 offen offset:384// 000000009AE4: E1341180 80088F08
	v_lshrrev_b32_e32 v28, 4, v0                               // 000000009AEC: 20380084
	v_mul_i32_i24_e32 v24, 2, v28                              // 000000009AF0: 0C303882
	v_and_b32_e32 v28, 15, v0                                  // 000000009AF4: 2638008F
	v_mul_i32_i24_e32 v29, 0x42, v28                           // 000000009AF8: 0C3A38FF 00000042
	v_add_u32_e32 v24, v29, v24                                // 000000009B00: 6830311D
	s_mul_i32 s60, s46, 0x420                                  // 000000009B04: 923CFF2E 00000420
	v_add_u32_e32 v24, s60, v24                                // 000000009B0C: 6830303C
	v_lshlrev_b32_e32 v24, 2, v24                              // 000000009B10: 24303082
	v_and_b32_e32 v28, 15, v0                                  // 000000009B14: 2638008F
	v_mov_b32_e32 v29, s98                                     // 000000009B18: 7E3A0262
	v_lshrrev_b32_e32 v29, 3, v29                              // 000000009B1C: 203A3A83
	v_cmp_lt_u32_e64 s[90:91], v28, v29                        // 000000009B20: D0C9005A 00023B1C
	v_accvgpr_read_b32 v28, a160                               // 000000009B28: D3D8401C 180001A0
	v_accvgpr_read_b32 v29, a161                               // 000000009B30: D3D8401D 180001A1
	v_mul_f32_e32 v28, s47, v28                                // 000000009B38: 0A38382F
	v_mul_f32_e32 v29, s47, v29                                // 000000009B3C: 0A3A3A2F
	v_cvt_pkrtz_f16_f32 v48, v28, v29                          // 000000009B40: D2960030 00023B1C
	v_accvgpr_read_b32 v28, a162                               // 000000009B48: D3D8401C 180001A2
	v_accvgpr_read_b32 v29, a163                               // 000000009B50: D3D8401D 180001A3
	v_mul_f32_e32 v28, s47, v28                                // 000000009B58: 0A38382F
	v_mul_f32_e32 v29, s47, v29                                // 000000009B5C: 0A3A3A2F
	v_cvt_pkrtz_f16_f32 v49, v28, v29                          // 000000009B60: D2960031 00023B1C
	v_accvgpr_read_b32 v28, a164                               // 000000009B68: D3D8401C 180001A4
	v_accvgpr_read_b32 v29, a165                               // 000000009B70: D3D8401D 180001A5
	v_mul_f32_e32 v28, s47, v28                                // 000000009B78: 0A38382F
	v_mul_f32_e32 v29, s47, v29                                // 000000009B7C: 0A3A3A2F
	v_cvt_pkrtz_f16_f32 v50, v28, v29                          // 000000009B80: D2960032 00023B1C
	v_accvgpr_read_b32 v28, a166                               // 000000009B88: D3D8401C 180001A6
	v_accvgpr_read_b32 v29, a167                               // 000000009B90: D3D8401D 180001A7
	v_mul_f32_e32 v28, s47, v28                                // 000000009B98: 0A38382F
	v_mul_f32_e32 v29, s47, v29                                // 000000009B9C: 0A3A3A2F
	v_cvt_pkrtz_f16_f32 v51, v28, v29                          // 000000009BA0: D2960033 00023B1C
	v_accvgpr_read_b32 v28, a168                               // 000000009BA8: D3D8401C 180001A8
	v_accvgpr_read_b32 v29, a169                               // 000000009BB0: D3D8401D 180001A9
	v_mul_f32_e32 v28, s47, v28                                // 000000009BB8: 0A38382F
	v_mul_f32_e32 v29, s47, v29                                // 000000009BBC: 0A3A3A2F
	v_cvt_pkrtz_f16_f32 v52, v28, v29                          // 000000009BC0: D2960034 00023B1C
	v_accvgpr_read_b32 v28, a170                               // 000000009BC8: D3D8401C 180001AA
	v_accvgpr_read_b32 v29, a171                               // 000000009BD0: D3D8401D 180001AB
	v_mul_f32_e32 v28, s47, v28                                // 000000009BD8: 0A38382F
	v_mul_f32_e32 v29, s47, v29                                // 000000009BDC: 0A3A3A2F
	v_cvt_pkrtz_f16_f32 v53, v28, v29                          // 000000009BE0: D2960035 00023B1C
	v_accvgpr_read_b32 v28, a172                               // 000000009BE8: D3D8401C 180001AC
	v_accvgpr_read_b32 v29, a173                               // 000000009BF0: D3D8401D 180001AD
	v_mul_f32_e32 v28, s47, v28                                // 000000009BF8: 0A38382F
	v_mul_f32_e32 v29, s47, v29                                // 000000009BFC: 0A3A3A2F
	v_cvt_pkrtz_f16_f32 v54, v28, v29                          // 000000009C00: D2960036 00023B1C
	v_accvgpr_read_b32 v28, a174                               // 000000009C08: D3D8401C 180001AE
	v_accvgpr_read_b32 v29, a175                               // 000000009C10: D3D8401D 180001AF
	v_mul_f32_e32 v28, s47, v28                                // 000000009C18: 0A38382F
	v_mul_f32_e32 v29, s47, v29                                // 000000009C1C: 0A3A3A2F
	v_cvt_pkrtz_f16_f32 v55, v28, v29                          // 000000009C20: D2960037 00023B1C
	v_accvgpr_read_b32 v28, a176                               // 000000009C28: D3D8401C 180001B0
	v_accvgpr_read_b32 v29, a177                               // 000000009C30: D3D8401D 180001B1
	v_mul_f32_e32 v28, s47, v28                                // 000000009C38: 0A38382F
	v_mul_f32_e32 v29, s47, v29                                // 000000009C3C: 0A3A3A2F
	v_cvt_pkrtz_f16_f32 v56, v28, v29                          // 000000009C40: D2960038 00023B1C
	v_accvgpr_read_b32 v28, a178                               // 000000009C48: D3D8401C 180001B2
	v_accvgpr_read_b32 v29, a179                               // 000000009C50: D3D8401D 180001B3
	v_mul_f32_e32 v28, s47, v28                                // 000000009C58: 0A38382F
	v_mul_f32_e32 v29, s47, v29                                // 000000009C5C: 0A3A3A2F
	v_cvt_pkrtz_f16_f32 v57, v28, v29                          // 000000009C60: D2960039 00023B1C
	v_accvgpr_read_b32 v28, a180                               // 000000009C68: D3D8401C 180001B4
	v_accvgpr_read_b32 v29, a181                               // 000000009C70: D3D8401D 180001B5
	v_mul_f32_e32 v28, s47, v28                                // 000000009C78: 0A38382F
	v_mul_f32_e32 v29, s47, v29                                // 000000009C7C: 0A3A3A2F
	v_cvt_pkrtz_f16_f32 v58, v28, v29                          // 000000009C80: D296003A 00023B1C
	v_accvgpr_read_b32 v28, a182                               // 000000009C88: D3D8401C 180001B6
	v_accvgpr_read_b32 v29, a183                               // 000000009C90: D3D8401D 180001B7
	v_mul_f32_e32 v28, s47, v28                                // 000000009C98: 0A38382F
	v_mul_f32_e32 v29, s47, v29                                // 000000009C9C: 0A3A3A2F
	v_cvt_pkrtz_f16_f32 v59, v28, v29                          // 000000009CA0: D296003B 00023B1C
	v_accvgpr_read_b32 v28, a184                               // 000000009CA8: D3D8401C 180001B8
	v_accvgpr_read_b32 v29, a185                               // 000000009CB0: D3D8401D 180001B9
	v_mul_f32_e32 v28, s47, v28                                // 000000009CB8: 0A38382F
	v_mul_f32_e32 v29, s47, v29                                // 000000009CBC: 0A3A3A2F
	v_cvt_pkrtz_f16_f32 v60, v28, v29                          // 000000009CC0: D296003C 00023B1C
	v_accvgpr_read_b32 v28, a186                               // 000000009CC8: D3D8401C 180001BA
	v_accvgpr_read_b32 v29, a187                               // 000000009CD0: D3D8401D 180001BB
	v_mul_f32_e32 v28, s47, v28                                // 000000009CD8: 0A38382F
	v_mul_f32_e32 v29, s47, v29                                // 000000009CDC: 0A3A3A2F
	v_cvt_pkrtz_f16_f32 v61, v28, v29                          // 000000009CE0: D296003D 00023B1C
	v_accvgpr_read_b32 v28, a188                               // 000000009CE8: D3D8401C 180001BC
	v_accvgpr_read_b32 v29, a189                               // 000000009CF0: D3D8401D 180001BD
	v_mul_f32_e32 v28, s47, v28                                // 000000009CF8: 0A38382F
	v_mul_f32_e32 v29, s47, v29                                // 000000009CFC: 0A3A3A2F
	v_cvt_pkrtz_f16_f32 v62, v28, v29                          // 000000009D00: D296003E 00023B1C
	v_accvgpr_read_b32 v28, a190                               // 000000009D08: D3D8401C 180001BE
	v_accvgpr_read_b32 v29, a191                               // 000000009D10: D3D8401D 180001BF
	v_mul_f32_e32 v28, s47, v28                                // 000000009D18: 0A38382F
	v_mul_f32_e32 v29, s47, v29                                // 000000009D1C: 0A3A3A2F
	v_cvt_pkrtz_f16_f32 v63, v28, v29                          // 000000009D20: D296003F 00023B1C
	ds_write_b64 v25, v[48:49]                                 // 000000009D28: D89A0000 00003019
	ds_write_b64 v25, v[50:51] offset:528                      // 000000009D30: D89A0210 00003219
	ds_write_b64 v25, v[52:53] offset:1056                     // 000000009D38: D89A0420 00003419
	ds_write_b64 v25, v[54:55] offset:1584                     // 000000009D40: D89A0630 00003619
	ds_write_b64 v25, v[56:57] offset:2112                     // 000000009D48: D89A0840 00003819
	ds_write_b64 v25, v[58:59] offset:2640                     // 000000009D50: D89A0A50 00003A19
	ds_write_b64 v25, v[60:61] offset:3168                     // 000000009D58: D89A0C60 00003C19
	ds_write_b64 v25, v[62:63] offset:3696                     // 000000009D60: D89A0E70 00003E19
	s_waitcnt lgkmcnt(0)                                       // 000000009D68: BF8CC07F
	s_barrier                                                  // 000000009D6C: BF8A0000
	ds_read_b64 v[48:49], v24                                  // 000000009D70: D8EC0000 30000018
	ds_read_b64 v[50:51], v24 offset:128                       // 000000009D78: D8EC0080 32000018
	ds_read_b64 v[52:53], v24 offset:32                        // 000000009D80: D8EC0020 34000018
	ds_read_b64 v[54:55], v24 offset:160                       // 000000009D88: D8EC00A0 36000018
	ds_read_b64 v[56:57], v24 offset:64                        // 000000009D90: D8EC0040 38000018
	ds_read_b64 v[58:59], v24 offset:192                       // 000000009D98: D8EC00C0 3A000018
	ds_read_b64 v[60:61], v24 offset:96                        // 000000009DA0: D8EC0060 3C000018
	ds_read_b64 v[62:63], v24 offset:224                       // 000000009DA8: D8EC00E0 3E000018
	s_waitcnt lgkmcnt(0)                                       // 000000009DB0: BF8CC07F
	s_mov_b32 s70, s52                                         // 000000009DB4: BEC60034
	s_mov_b64 exec, s[90:91]                                   // 000000009DB8: BEFE015A
	buffer_store_dwordx4 v[48:51], v5, s[36:39], 0 idxen       // 000000009DBC: E07C2000 80093005
	s_mov_b32 exec_lo, -1                                      // 000000009DC4: BEFE00C1
	s_mov_b32 exec_hi, -1                                      // 000000009DC8: BEFF00C1
	v_add_u32_e32 v5, s70, v5                                  // 000000009DCC: 680A0A46
	s_mov_b64 exec, s[90:91]                                   // 000000009DD0: BEFE015A
	buffer_store_dwordx4 v[52:55], v5, s[36:39], 0 idxen       // 000000009DD4: E07C2000 80093405
	s_mov_b32 exec_lo, -1                                      // 000000009DDC: BEFE00C1
	s_mov_b32 exec_hi, -1                                      // 000000009DE0: BEFF00C1
	v_add_u32_e32 v5, s70, v5                                  // 000000009DE4: 680A0A46
	s_mov_b64 exec, s[90:91]                                   // 000000009DE8: BEFE015A
	buffer_store_dwordx4 v[56:59], v5, s[36:39], 0 idxen       // 000000009DEC: E07C2000 80093805
	s_mov_b32 exec_lo, -1                                      // 000000009DF4: BEFE00C1
	s_mov_b32 exec_hi, -1                                      // 000000009DF8: BEFF00C1
	v_add_u32_e32 v5, s70, v5                                  // 000000009DFC: 680A0A46
	s_mov_b64 exec, s[90:91]                                   // 000000009E00: BEFE015A
	buffer_store_dwordx4 v[60:63], v5, s[36:39], 0 idxen       // 000000009E04: E07C2000 80093C05
	s_mov_b32 exec_lo, -1                                      // 000000009E0C: BEFE00C1
	s_mov_b32 exec_hi, -1                                      // 000000009E10: BEFF00C1
	v_add_u32_e32 v5, s70, v5                                  // 000000009E14: 680A0A46
	s_mul_i32 s60, 12, s70                                     // 000000009E18: 923C468C
	v_add_u32_e32 v5, s60, v5                                  // 000000009E1C: 680A0A3C
	s_barrier                                                  // 000000009E20: BF8A0000
	s_cmp_ge_i32 1, s72                                        // 000000009E24: BF034881
	s_cbranch_scc1 label_19A1                                  // 000000009E28: BF850182
	v_accvgpr_read_b32 v28, a192                               // 000000009E2C: D3D8401C 180001C0
	v_accvgpr_read_b32 v29, a193                               // 000000009E34: D3D8401D 180001C1
	v_mul_f32_e32 v28, s47, v28                                // 000000009E3C: 0A38382F
	v_mul_f32_e32 v29, s47, v29                                // 000000009E40: 0A3A3A2F
	v_cvt_pkrtz_f16_f32 v64, v28, v29                          // 000000009E44: D2960040 00023B1C
	v_accvgpr_read_b32 v28, a194                               // 000000009E4C: D3D8401C 180001C2
	v_accvgpr_read_b32 v29, a195                               // 000000009E54: D3D8401D 180001C3
	v_mul_f32_e32 v28, s47, v28                                // 000000009E5C: 0A38382F
	v_mul_f32_e32 v29, s47, v29                                // 000000009E60: 0A3A3A2F
	v_cvt_pkrtz_f16_f32 v65, v28, v29                          // 000000009E64: D2960041 00023B1C
	v_accvgpr_read_b32 v28, a196                               // 000000009E6C: D3D8401C 180001C4
	v_accvgpr_read_b32 v29, a197                               // 000000009E74: D3D8401D 180001C5
	v_mul_f32_e32 v28, s47, v28                                // 000000009E7C: 0A38382F
	v_mul_f32_e32 v29, s47, v29                                // 000000009E80: 0A3A3A2F
	v_cvt_pkrtz_f16_f32 v66, v28, v29                          // 000000009E84: D2960042 00023B1C
	v_accvgpr_read_b32 v28, a198                               // 000000009E8C: D3D8401C 180001C6
	v_accvgpr_read_b32 v29, a199                               // 000000009E94: D3D8401D 180001C7
	v_mul_f32_e32 v28, s47, v28                                // 000000009E9C: 0A38382F
	v_mul_f32_e32 v29, s47, v29                                // 000000009EA0: 0A3A3A2F
	v_cvt_pkrtz_f16_f32 v67, v28, v29                          // 000000009EA4: D2960043 00023B1C
	v_accvgpr_read_b32 v28, a200                               // 000000009EAC: D3D8401C 180001C8
	v_accvgpr_read_b32 v29, a201                               // 000000009EB4: D3D8401D 180001C9
	v_mul_f32_e32 v28, s47, v28                                // 000000009EBC: 0A38382F
	v_mul_f32_e32 v29, s47, v29                                // 000000009EC0: 0A3A3A2F
	v_cvt_pkrtz_f16_f32 v68, v28, v29                          // 000000009EC4: D2960044 00023B1C
	v_accvgpr_read_b32 v28, a202                               // 000000009ECC: D3D8401C 180001CA
	v_accvgpr_read_b32 v29, a203                               // 000000009ED4: D3D8401D 180001CB
	v_mul_f32_e32 v28, s47, v28                                // 000000009EDC: 0A38382F
	v_mul_f32_e32 v29, s47, v29                                // 000000009EE0: 0A3A3A2F
	v_cvt_pkrtz_f16_f32 v69, v28, v29                          // 000000009EE4: D2960045 00023B1C
	v_accvgpr_read_b32 v28, a204                               // 000000009EEC: D3D8401C 180001CC
	v_accvgpr_read_b32 v29, a205                               // 000000009EF4: D3D8401D 180001CD
	v_mul_f32_e32 v28, s47, v28                                // 000000009EFC: 0A38382F
	v_mul_f32_e32 v29, s47, v29                                // 000000009F00: 0A3A3A2F
	v_cvt_pkrtz_f16_f32 v70, v28, v29                          // 000000009F04: D2960046 00023B1C
	v_accvgpr_read_b32 v28, a206                               // 000000009F0C: D3D8401C 180001CE
	v_accvgpr_read_b32 v29, a207                               // 000000009F14: D3D8401D 180001CF
	v_mul_f32_e32 v28, s47, v28                                // 000000009F1C: 0A38382F
	v_mul_f32_e32 v29, s47, v29                                // 000000009F20: 0A3A3A2F
	v_cvt_pkrtz_f16_f32 v71, v28, v29                          // 000000009F24: D2960047 00023B1C
	v_accvgpr_read_b32 v28, a208                               // 000000009F2C: D3D8401C 180001D0
	v_accvgpr_read_b32 v29, a209                               // 000000009F34: D3D8401D 180001D1
	v_mul_f32_e32 v28, s47, v28                                // 000000009F3C: 0A38382F
	v_mul_f32_e32 v29, s47, v29                                // 000000009F40: 0A3A3A2F
	v_cvt_pkrtz_f16_f32 v72, v28, v29                          // 000000009F44: D2960048 00023B1C
	v_accvgpr_read_b32 v28, a210                               // 000000009F4C: D3D8401C 180001D2
	v_accvgpr_read_b32 v29, a211                               // 000000009F54: D3D8401D 180001D3
	v_mul_f32_e32 v28, s47, v28                                // 000000009F5C: 0A38382F
	v_mul_f32_e32 v29, s47, v29                                // 000000009F60: 0A3A3A2F
	v_cvt_pkrtz_f16_f32 v73, v28, v29                          // 000000009F64: D2960049 00023B1C
	v_accvgpr_read_b32 v28, a212                               // 000000009F6C: D3D8401C 180001D4
	v_accvgpr_read_b32 v29, a213                               // 000000009F74: D3D8401D 180001D5
	v_mul_f32_e32 v28, s47, v28                                // 000000009F7C: 0A38382F
	v_mul_f32_e32 v29, s47, v29                                // 000000009F80: 0A3A3A2F
	v_cvt_pkrtz_f16_f32 v74, v28, v29                          // 000000009F84: D296004A 00023B1C
	v_accvgpr_read_b32 v28, a214                               // 000000009F8C: D3D8401C 180001D6
	v_accvgpr_read_b32 v29, a215                               // 000000009F94: D3D8401D 180001D7
	v_mul_f32_e32 v28, s47, v28                                // 000000009F9C: 0A38382F
	v_mul_f32_e32 v29, s47, v29                                // 000000009FA0: 0A3A3A2F
	v_cvt_pkrtz_f16_f32 v75, v28, v29                          // 000000009FA4: D296004B 00023B1C
	v_accvgpr_read_b32 v28, a216                               // 000000009FAC: D3D8401C 180001D8
	v_accvgpr_read_b32 v29, a217                               // 000000009FB4: D3D8401D 180001D9
	v_mul_f32_e32 v28, s47, v28                                // 000000009FBC: 0A38382F
	v_mul_f32_e32 v29, s47, v29                                // 000000009FC0: 0A3A3A2F
	v_cvt_pkrtz_f16_f32 v76, v28, v29                          // 000000009FC4: D296004C 00023B1C
	v_accvgpr_read_b32 v28, a218                               // 000000009FCC: D3D8401C 180001DA
	v_accvgpr_read_b32 v29, a219                               // 000000009FD4: D3D8401D 180001DB
	v_mul_f32_e32 v28, s47, v28                                // 000000009FDC: 0A38382F
	v_mul_f32_e32 v29, s47, v29                                // 000000009FE0: 0A3A3A2F
	v_cvt_pkrtz_f16_f32 v77, v28, v29                          // 000000009FE4: D296004D 00023B1C
	v_accvgpr_read_b32 v28, a220                               // 000000009FEC: D3D8401C 180001DC
	v_accvgpr_read_b32 v29, a221                               // 000000009FF4: D3D8401D 180001DD
	v_mul_f32_e32 v28, s47, v28                                // 000000009FFC: 0A38382F
	v_mul_f32_e32 v29, s47, v29                                // 00000000A000: 0A3A3A2F
	v_cvt_pkrtz_f16_f32 v78, v28, v29                          // 00000000A004: D296004E 00023B1C
	v_accvgpr_read_b32 v28, a222                               // 00000000A00C: D3D8401C 180001DE
	v_accvgpr_read_b32 v29, a223                               // 00000000A014: D3D8401D 180001DF
	v_mul_f32_e32 v28, s47, v28                                // 00000000A01C: 0A38382F
	v_mul_f32_e32 v29, s47, v29                                // 00000000A020: 0A3A3A2F
	v_cvt_pkrtz_f16_f32 v79, v28, v29                          // 00000000A024: D296004F 00023B1C
	ds_write_b64 v25, v[64:65] offset:16896                    // 00000000A02C: D89A4200 00004019
	ds_write_b64 v25, v[66:67] offset:17424                    // 00000000A034: D89A4410 00004219
	ds_write_b64 v25, v[68:69] offset:17952                    // 00000000A03C: D89A4620 00004419
	ds_write_b64 v25, v[70:71] offset:18480                    // 00000000A044: D89A4830 00004619
	ds_write_b64 v25, v[72:73] offset:19008                    // 00000000A04C: D89A4A40 00004819
	ds_write_b64 v25, v[74:75] offset:19536                    // 00000000A054: D89A4C50 00004A19
	ds_write_b64 v25, v[76:77] offset:20064                    // 00000000A05C: D89A4E60 00004C19
	ds_write_b64 v25, v[78:79] offset:20592                    // 00000000A064: D89A5070 00004E19
	s_waitcnt lgkmcnt(0)                                       // 00000000A06C: BF8CC07F
	s_barrier                                                  // 00000000A070: BF8A0000
	ds_read_b64 v[64:65], v24 offset:16896                     // 00000000A074: D8EC4200 40000018
	ds_read_b64 v[66:67], v24 offset:17024                     // 00000000A07C: D8EC4280 42000018
	ds_read_b64 v[68:69], v24 offset:16928                     // 00000000A084: D8EC4220 44000018
	ds_read_b64 v[70:71], v24 offset:17056                     // 00000000A08C: D8EC42A0 46000018
	ds_read_b64 v[72:73], v24 offset:16960                     // 00000000A094: D8EC4240 48000018
	ds_read_b64 v[74:75], v24 offset:17088                     // 00000000A09C: D8EC42C0 4A000018
	ds_read_b64 v[76:77], v24 offset:16992                     // 00000000A0A4: D8EC4260 4C000018
	ds_read_b64 v[78:79], v24 offset:17120                     // 00000000A0AC: D8EC42E0 4E000018
	s_waitcnt lgkmcnt(0)                                       // 00000000A0B4: BF8CC07F
	s_mov_b32 s70, s52                                         // 00000000A0B8: BEC60034
	s_mov_b64 exec, s[90:91]                                   // 00000000A0BC: BEFE015A
	buffer_store_dwordx4 v[64:67], v5, s[36:39], 0 idxen       // 00000000A0C0: E07C2000 80094005
	s_mov_b32 exec_lo, -1                                      // 00000000A0C8: BEFE00C1
	s_mov_b32 exec_hi, -1                                      // 00000000A0CC: BEFF00C1
	v_add_u32_e32 v5, s70, v5                                  // 00000000A0D0: 680A0A46
	s_mov_b64 exec, s[90:91]                                   // 00000000A0D4: BEFE015A
	buffer_store_dwordx4 v[68:71], v5, s[36:39], 0 idxen       // 00000000A0D8: E07C2000 80094405
	s_mov_b32 exec_lo, -1                                      // 00000000A0E0: BEFE00C1
	s_mov_b32 exec_hi, -1                                      // 00000000A0E4: BEFF00C1
	v_add_u32_e32 v5, s70, v5                                  // 00000000A0E8: 680A0A46
	s_mov_b64 exec, s[90:91]                                   // 00000000A0EC: BEFE015A
	buffer_store_dwordx4 v[72:75], v5, s[36:39], 0 idxen       // 00000000A0F0: E07C2000 80094805
	s_mov_b32 exec_lo, -1                                      // 00000000A0F8: BEFE00C1
	s_mov_b32 exec_hi, -1                                      // 00000000A0FC: BEFF00C1
	v_add_u32_e32 v5, s70, v5                                  // 00000000A100: 680A0A46
	s_mov_b64 exec, s[90:91]                                   // 00000000A104: BEFE015A
	buffer_store_dwordx4 v[76:79], v5, s[36:39], 0 idxen       // 00000000A108: E07C2000 80094C05
	s_mov_b32 exec_lo, -1                                      // 00000000A110: BEFE00C1
	s_mov_b32 exec_hi, -1                                      // 00000000A114: BEFF00C1
	v_add_u32_e32 v5, s70, v5                                  // 00000000A118: 680A0A46
	s_mul_i32 s60, 12, s70                                     // 00000000A11C: 923C468C
	v_add_u32_e32 v5, s60, v5                                  // 00000000A120: 680A0A3C
	s_barrier                                                  // 00000000A124: BF8A0000
	s_cmp_ge_i32 2, s72                                        // 00000000A128: BF034882
	s_cbranch_scc1 label_19A1                                  // 00000000A12C: BF8500C1
	v_accvgpr_read_b32 v28, a224                               // 00000000A130: D3D8401C 180001E0
	v_accvgpr_read_b32 v29, a225                               // 00000000A138: D3D8401D 180001E1
	v_mul_f32_e32 v28, s47, v28                                // 00000000A140: 0A38382F
	v_mul_f32_e32 v29, s47, v29                                // 00000000A144: 0A3A3A2F
	v_cvt_pkrtz_f16_f32 v80, v28, v29                          // 00000000A148: D2960050 00023B1C
	v_accvgpr_read_b32 v28, a226                               // 00000000A150: D3D8401C 180001E2
	v_accvgpr_read_b32 v29, a227                               // 00000000A158: D3D8401D 180001E3
	v_mul_f32_e32 v28, s47, v28                                // 00000000A160: 0A38382F
	v_mul_f32_e32 v29, s47, v29                                // 00000000A164: 0A3A3A2F
	v_cvt_pkrtz_f16_f32 v81, v28, v29                          // 00000000A168: D2960051 00023B1C
	v_accvgpr_read_b32 v28, a228                               // 00000000A170: D3D8401C 180001E4
	v_accvgpr_read_b32 v29, a229                               // 00000000A178: D3D8401D 180001E5
	v_mul_f32_e32 v28, s47, v28                                // 00000000A180: 0A38382F
	v_mul_f32_e32 v29, s47, v29                                // 00000000A184: 0A3A3A2F
	v_cvt_pkrtz_f16_f32 v82, v28, v29                          // 00000000A188: D2960052 00023B1C
	v_accvgpr_read_b32 v28, a230                               // 00000000A190: D3D8401C 180001E6
	v_accvgpr_read_b32 v29, a231                               // 00000000A198: D3D8401D 180001E7
	v_mul_f32_e32 v28, s47, v28                                // 00000000A1A0: 0A38382F
	v_mul_f32_e32 v29, s47, v29                                // 00000000A1A4: 0A3A3A2F
	v_cvt_pkrtz_f16_f32 v83, v28, v29                          // 00000000A1A8: D2960053 00023B1C
	v_accvgpr_read_b32 v28, a232                               // 00000000A1B0: D3D8401C 180001E8
	v_accvgpr_read_b32 v29, a233                               // 00000000A1B8: D3D8401D 180001E9
	v_mul_f32_e32 v28, s47, v28                                // 00000000A1C0: 0A38382F
	v_mul_f32_e32 v29, s47, v29                                // 00000000A1C4: 0A3A3A2F
	v_cvt_pkrtz_f16_f32 v84, v28, v29                          // 00000000A1C8: D2960054 00023B1C
	v_accvgpr_read_b32 v28, a234                               // 00000000A1D0: D3D8401C 180001EA
	v_accvgpr_read_b32 v29, a235                               // 00000000A1D8: D3D8401D 180001EB
	v_mul_f32_e32 v28, s47, v28                                // 00000000A1E0: 0A38382F
	v_mul_f32_e32 v29, s47, v29                                // 00000000A1E4: 0A3A3A2F
	v_cvt_pkrtz_f16_f32 v85, v28, v29                          // 00000000A1E8: D2960055 00023B1C
	v_accvgpr_read_b32 v28, a236                               // 00000000A1F0: D3D8401C 180001EC
	v_accvgpr_read_b32 v29, a237                               // 00000000A1F8: D3D8401D 180001ED
	v_mul_f32_e32 v28, s47, v28                                // 00000000A200: 0A38382F
	v_mul_f32_e32 v29, s47, v29                                // 00000000A204: 0A3A3A2F
	v_cvt_pkrtz_f16_f32 v86, v28, v29                          // 00000000A208: D2960056 00023B1C
	v_accvgpr_read_b32 v28, a238                               // 00000000A210: D3D8401C 180001EE
	v_accvgpr_read_b32 v29, a239                               // 00000000A218: D3D8401D 180001EF
	v_mul_f32_e32 v28, s47, v28                                // 00000000A220: 0A38382F
	v_mul_f32_e32 v29, s47, v29                                // 00000000A224: 0A3A3A2F
	v_cvt_pkrtz_f16_f32 v87, v28, v29                          // 00000000A228: D2960057 00023B1C
	v_accvgpr_read_b32 v28, a240                               // 00000000A230: D3D8401C 180001F0
	v_accvgpr_read_b32 v29, a241                               // 00000000A238: D3D8401D 180001F1
	v_mul_f32_e32 v28, s47, v28                                // 00000000A240: 0A38382F
	v_mul_f32_e32 v29, s47, v29                                // 00000000A244: 0A3A3A2F
	v_cvt_pkrtz_f16_f32 v88, v28, v29                          // 00000000A248: D2960058 00023B1C
	v_accvgpr_read_b32 v28, a242                               // 00000000A250: D3D8401C 180001F2
	v_accvgpr_read_b32 v29, a243                               // 00000000A258: D3D8401D 180001F3
	v_mul_f32_e32 v28, s47, v28                                // 00000000A260: 0A38382F
	v_mul_f32_e32 v29, s47, v29                                // 00000000A264: 0A3A3A2F
	v_cvt_pkrtz_f16_f32 v89, v28, v29                          // 00000000A268: D2960059 00023B1C
	v_accvgpr_read_b32 v28, a244                               // 00000000A270: D3D8401C 180001F4
	v_accvgpr_read_b32 v29, a245                               // 00000000A278: D3D8401D 180001F5
	v_mul_f32_e32 v28, s47, v28                                // 00000000A280: 0A38382F
	v_mul_f32_e32 v29, s47, v29                                // 00000000A284: 0A3A3A2F
	v_cvt_pkrtz_f16_f32 v90, v28, v29                          // 00000000A288: D296005A 00023B1C
	v_accvgpr_read_b32 v28, a246                               // 00000000A290: D3D8401C 180001F6
	v_accvgpr_read_b32 v29, a247                               // 00000000A298: D3D8401D 180001F7
	v_mul_f32_e32 v28, s47, v28                                // 00000000A2A0: 0A38382F
	v_mul_f32_e32 v29, s47, v29                                // 00000000A2A4: 0A3A3A2F
	v_cvt_pkrtz_f16_f32 v91, v28, v29                          // 00000000A2A8: D296005B 00023B1C
	v_accvgpr_read_b32 v28, a248                               // 00000000A2B0: D3D8401C 180001F8
	v_accvgpr_read_b32 v29, a249                               // 00000000A2B8: D3D8401D 180001F9
	v_mul_f32_e32 v28, s47, v28                                // 00000000A2C0: 0A38382F
	v_mul_f32_e32 v29, s47, v29                                // 00000000A2C4: 0A3A3A2F
	v_cvt_pkrtz_f16_f32 v92, v28, v29                          // 00000000A2C8: D296005C 00023B1C
	v_accvgpr_read_b32 v28, a250                               // 00000000A2D0: D3D8401C 180001FA
	v_accvgpr_read_b32 v29, a251                               // 00000000A2D8: D3D8401D 180001FB
	v_mul_f32_e32 v28, s47, v28                                // 00000000A2E0: 0A38382F
	v_mul_f32_e32 v29, s47, v29                                // 00000000A2E4: 0A3A3A2F
	v_cvt_pkrtz_f16_f32 v93, v28, v29                          // 00000000A2E8: D296005D 00023B1C
	v_accvgpr_read_b32 v28, a252                               // 00000000A2F0: D3D8401C 180001FC
	v_accvgpr_read_b32 v29, a253                               // 00000000A2F8: D3D8401D 180001FD
	v_mul_f32_e32 v28, s47, v28                                // 00000000A300: 0A38382F
	v_mul_f32_e32 v29, s47, v29                                // 00000000A304: 0A3A3A2F
	v_cvt_pkrtz_f16_f32 v94, v28, v29                          // 00000000A308: D296005E 00023B1C
	v_accvgpr_read_b32 v28, a254                               // 00000000A310: D3D8401C 180001FE
	v_accvgpr_read_b32 v29, a255                               // 00000000A318: D3D8401D 180001FF
	v_mul_f32_e32 v28, s47, v28                                // 00000000A320: 0A38382F
	v_mul_f32_e32 v29, s47, v29                                // 00000000A324: 0A3A3A2F
	v_cvt_pkrtz_f16_f32 v95, v28, v29                          // 00000000A328: D296005F 00023B1C
	ds_write_b64 v25, v[80:81] offset:33792                    // 00000000A330: D89A8400 00005019
	ds_write_b64 v25, v[82:83] offset:34320                    // 00000000A338: D89A8610 00005219
	ds_write_b64 v25, v[84:85] offset:34848                    // 00000000A340: D89A8820 00005419
	ds_write_b64 v25, v[86:87] offset:35376                    // 00000000A348: D89A8A30 00005619
	ds_write_b64 v25, v[88:89] offset:35904                    // 00000000A350: D89A8C40 00005819
	ds_write_b64 v25, v[90:91] offset:36432                    // 00000000A358: D89A8E50 00005A19
	ds_write_b64 v25, v[92:93] offset:36960                    // 00000000A360: D89A9060 00005C19
	ds_write_b64 v25, v[94:95] offset:37488                    // 00000000A368: D89A9270 00005E19
	s_waitcnt lgkmcnt(0)                                       // 00000000A370: BF8CC07F
	s_barrier                                                  // 00000000A374: BF8A0000
	ds_read_b64 v[80:81], v24 offset:33792                     // 00000000A378: D8EC8400 50000018
	ds_read_b64 v[82:83], v24 offset:33920                     // 00000000A380: D8EC8480 52000018
	ds_read_b64 v[84:85], v24 offset:33824                     // 00000000A388: D8EC8420 54000018
	ds_read_b64 v[86:87], v24 offset:33952                     // 00000000A390: D8EC84A0 56000018
	ds_read_b64 v[88:89], v24 offset:33856                     // 00000000A398: D8EC8440 58000018
	ds_read_b64 v[90:91], v24 offset:33984                     // 00000000A3A0: D8EC84C0 5A000018
	ds_read_b64 v[92:93], v24 offset:33888                     // 00000000A3A8: D8EC8460 5C000018
	ds_read_b64 v[94:95], v24 offset:34016                     // 00000000A3B0: D8EC84E0 5E000018
	s_waitcnt lgkmcnt(0)                                       // 00000000A3B8: BF8CC07F
	s_mov_b32 s70, s52                                         // 00000000A3BC: BEC60034
	s_mov_b64 exec, s[90:91]                                   // 00000000A3C0: BEFE015A
	buffer_store_dwordx4 v[80:83], v5, s[36:39], 0 idxen       // 00000000A3C4: E07C2000 80095005
	s_mov_b32 exec_lo, -1                                      // 00000000A3CC: BEFE00C1
	s_mov_b32 exec_hi, -1                                      // 00000000A3D0: BEFF00C1
	v_add_u32_e32 v5, s70, v5                                  // 00000000A3D4: 680A0A46
	s_mov_b64 exec, s[90:91]                                   // 00000000A3D8: BEFE015A
	buffer_store_dwordx4 v[84:87], v5, s[36:39], 0 idxen       // 00000000A3DC: E07C2000 80095405
	s_mov_b32 exec_lo, -1                                      // 00000000A3E4: BEFE00C1
	s_mov_b32 exec_hi, -1                                      // 00000000A3E8: BEFF00C1
	v_add_u32_e32 v5, s70, v5                                  // 00000000A3EC: 680A0A46
	s_mov_b64 exec, s[90:91]                                   // 00000000A3F0: BEFE015A
	buffer_store_dwordx4 v[88:91], v5, s[36:39], 0 idxen       // 00000000A3F4: E07C2000 80095805
	s_mov_b32 exec_lo, -1                                      // 00000000A3FC: BEFE00C1
	s_mov_b32 exec_hi, -1                                      // 00000000A400: BEFF00C1
	v_add_u32_e32 v5, s70, v5                                  // 00000000A404: 680A0A46
	s_mov_b64 exec, s[90:91]                                   // 00000000A408: BEFE015A
	buffer_store_dwordx4 v[92:95], v5, s[36:39], 0 idxen       // 00000000A40C: E07C2000 80095C05
	s_mov_b32 exec_lo, -1                                      // 00000000A414: BEFE00C1
	s_mov_b32 exec_hi, -1                                      // 00000000A418: BEFF00C1
	v_add_u32_e32 v5, s70, v5                                  // 00000000A41C: 680A0A46
	s_mul_i32 s60, 12, s70                                     // 00000000A420: 923C468C
	v_add_u32_e32 v5, s60, v5                                  // 00000000A424: 680A0A3C
	s_barrier                                                  // 00000000A428: BF8A0000
	s_cmp_ge_i32 3, s72                                        // 00000000A42C: BF034883
	s_cbranch_scc1 label_19A1                                  // 00000000A430: BF850000

000000000000a434 <label_19A1>:
	v_mov_b32_e32 v28, v152                                    // 00000000A434: 7E380398
	v_mov_b32_e32 v29, v153                                    // 00000000A438: 7E3A0399
	v_cvt_pkrtz_f16_f32 v152, v28, v29                         // 00000000A43C: D2960098 00023B1C
	v_mov_b32_e32 v28, v154                                    // 00000000A444: 7E38039A
	v_mov_b32_e32 v29, v155                                    // 00000000A448: 7E3A039B
	v_cvt_pkrtz_f16_f32 v153, v28, v29                         // 00000000A44C: D2960099 00023B1C
	v_mov_b32_e32 v28, v156                                    // 00000000A454: 7E38039C
	v_mov_b32_e32 v29, v157                                    // 00000000A458: 7E3A039D
	v_cvt_pkrtz_f16_f32 v154, v28, v29                         // 00000000A45C: D296009A 00023B1C
	v_mov_b32_e32 v28, v158                                    // 00000000A464: 7E38039E
	v_mov_b32_e32 v29, v159                                    // 00000000A468: 7E3A039F
	v_cvt_pkrtz_f16_f32 v155, v28, v29                         // 00000000A46C: D296009B 00023B1C
	v_mov_b32_e32 v28, v160                                    // 00000000A474: 7E3803A0
	v_mov_b32_e32 v29, v161                                    // 00000000A478: 7E3A03A1
	v_cvt_pkrtz_f16_f32 v156, v28, v29                         // 00000000A47C: D296009C 00023B1C
	v_mov_b32_e32 v28, v162                                    // 00000000A484: 7E3803A2
	v_mov_b32_e32 v29, v163                                    // 00000000A488: 7E3A03A3
	v_cvt_pkrtz_f16_f32 v157, v28, v29                         // 00000000A48C: D296009D 00023B1C
	v_mov_b32_e32 v28, v164                                    // 00000000A494: 7E3803A4
	v_mov_b32_e32 v29, v165                                    // 00000000A498: 7E3A03A5
	v_cvt_pkrtz_f16_f32 v158, v28, v29                         // 00000000A49C: D296009E 00023B1C
	v_mov_b32_e32 v28, v166                                    // 00000000A4A4: 7E3803A6
	v_mov_b32_e32 v29, v167                                    // 00000000A4A8: 7E3A03A7
	v_cvt_pkrtz_f16_f32 v159, v28, v29                         // 00000000A4AC: D296009F 00023B1C
	v_mov_b32_e32 v28, v168                                    // 00000000A4B4: 7E3803A8
	v_mov_b32_e32 v29, v169                                    // 00000000A4B8: 7E3A03A9
	v_cvt_pkrtz_f16_f32 v160, v28, v29                         // 00000000A4BC: D29600A0 00023B1C
	v_mov_b32_e32 v28, v170                                    // 00000000A4C4: 7E3803AA
	v_mov_b32_e32 v29, v171                                    // 00000000A4C8: 7E3A03AB
	v_cvt_pkrtz_f16_f32 v161, v28, v29                         // 00000000A4CC: D29600A1 00023B1C
	v_mov_b32_e32 v28, v172                                    // 00000000A4D4: 7E3803AC
	v_mov_b32_e32 v29, v173                                    // 00000000A4D8: 7E3A03AD
	v_cvt_pkrtz_f16_f32 v162, v28, v29                         // 00000000A4DC: D29600A2 00023B1C
	v_mov_b32_e32 v28, v174                                    // 00000000A4E4: 7E3803AE
	v_mov_b32_e32 v29, v175                                    // 00000000A4E8: 7E3A03AF
	v_cvt_pkrtz_f16_f32 v163, v28, v29                         // 00000000A4EC: D29600A3 00023B1C
	v_mov_b32_e32 v28, v176                                    // 00000000A4F4: 7E3803B0
	v_mov_b32_e32 v29, v177                                    // 00000000A4F8: 7E3A03B1
	v_cvt_pkrtz_f16_f32 v164, v28, v29                         // 00000000A4FC: D29600A4 00023B1C
	v_mov_b32_e32 v28, v178                                    // 00000000A504: 7E3803B2
	v_mov_b32_e32 v29, v179                                    // 00000000A508: 7E3A03B3
	v_cvt_pkrtz_f16_f32 v165, v28, v29                         // 00000000A50C: D29600A5 00023B1C
	v_mov_b32_e32 v28, v180                                    // 00000000A514: 7E3803B4
	v_mov_b32_e32 v29, v181                                    // 00000000A518: 7E3A03B5
	v_cvt_pkrtz_f16_f32 v166, v28, v29                         // 00000000A51C: D29600A6 00023B1C
	v_mov_b32_e32 v28, v182                                    // 00000000A524: 7E3803B6
	v_mov_b32_e32 v29, v183                                    // 00000000A528: 7E3A03B7
	v_cvt_pkrtz_f16_f32 v167, v28, v29                         // 00000000A52C: D29600A7 00023B1C
	ds_write_b64 v25, v[152:153]                               // 00000000A534: D89A0000 00009819
	ds_write_b64 v25, v[154:155] offset:528                    // 00000000A53C: D89A0210 00009A19
	ds_write_b64 v25, v[156:157] offset:1056                   // 00000000A544: D89A0420 00009C19
	ds_write_b64 v25, v[158:159] offset:1584                   // 00000000A54C: D89A0630 00009E19
	ds_write_b64 v25, v[160:161] offset:2112                   // 00000000A554: D89A0840 0000A019
	ds_write_b64 v25, v[162:163] offset:2640                   // 00000000A55C: D89A0A50 0000A219
	ds_write_b64 v25, v[164:165] offset:3168                   // 00000000A564: D89A0C60 0000A419
	ds_write_b64 v25, v[166:167] offset:3696                   // 00000000A56C: D89A0E70 0000A619
	s_waitcnt lgkmcnt(0)                                       // 00000000A574: BF8CC07F
	s_barrier                                                  // 00000000A578: BF8A0000
	ds_read_b64 v[152:153], v24                                // 00000000A57C: D8EC0000 98000018
	ds_read_b64 v[154:155], v24 offset:128                     // 00000000A584: D8EC0080 9A000018
	ds_read_b64 v[156:157], v24 offset:32                      // 00000000A58C: D8EC0020 9C000018
	ds_read_b64 v[158:159], v24 offset:160                     // 00000000A594: D8EC00A0 9E000018
	ds_read_b64 v[160:161], v24 offset:64                      // 00000000A59C: D8EC0040 A0000018
	ds_read_b64 v[162:163], v24 offset:192                     // 00000000A5A4: D8EC00C0 A2000018
	ds_read_b64 v[164:165], v24 offset:96                      // 00000000A5AC: D8EC0060 A4000018
	ds_read_b64 v[166:167], v24 offset:224                     // 00000000A5B4: D8EC00E0 A6000018
	s_waitcnt lgkmcnt(0)                                       // 00000000A5BC: BF8CC07F
	s_mov_b32 s70, s53                                         // 00000000A5C0: BEC60035
	s_mov_b64 exec, s[90:91]                                   // 00000000A5C4: BEFE015A
	buffer_store_dwordx4 v[152:155], v6, s[40:43], 0 idxen     // 00000000A5C8: E07C2000 800A9806
	s_mov_b32 exec_lo, -1                                      // 00000000A5D0: BEFE00C1
	s_mov_b32 exec_hi, -1                                      // 00000000A5D4: BEFF00C1
	v_add_u32_e32 v6, s70, v6                                  // 00000000A5D8: 680C0C46
	s_mov_b64 exec, s[90:91]                                   // 00000000A5DC: BEFE015A
	buffer_store_dwordx4 v[156:159], v6, s[40:43], 0 idxen     // 00000000A5E0: E07C2000 800A9C06
	s_mov_b32 exec_lo, -1                                      // 00000000A5E8: BEFE00C1
	s_mov_b32 exec_hi, -1                                      // 00000000A5EC: BEFF00C1
	v_add_u32_e32 v6, s70, v6                                  // 00000000A5F0: 680C0C46
	s_mov_b64 exec, s[90:91]                                   // 00000000A5F4: BEFE015A
	buffer_store_dwordx4 v[160:163], v6, s[40:43], 0 idxen     // 00000000A5F8: E07C2000 800AA006
	s_mov_b32 exec_lo, -1                                      // 00000000A600: BEFE00C1
	s_mov_b32 exec_hi, -1                                      // 00000000A604: BEFF00C1
	v_add_u32_e32 v6, s70, v6                                  // 00000000A608: 680C0C46
	s_mov_b64 exec, s[90:91]                                   // 00000000A60C: BEFE015A
	buffer_store_dwordx4 v[164:167], v6, s[40:43], 0 idxen     // 00000000A610: E07C2000 800AA406
	s_mov_b32 exec_lo, -1                                      // 00000000A618: BEFE00C1
	s_mov_b32 exec_hi, -1                                      // 00000000A61C: BEFF00C1
	v_add_u32_e32 v6, s70, v6                                  // 00000000A620: 680C0C46
	s_mul_i32 s60, 12, s70                                     // 00000000A624: 923C468C
	v_add_u32_e32 v6, s60, v6                                  // 00000000A628: 680C0C3C
	s_cmp_ge_i32 1, s72                                        // 00000000A62C: BF034881
	s_cbranch_scc1 label_1B21                                  // 00000000A630: BF850100
	v_mov_b32_e32 v28, v184                                    // 00000000A634: 7E3803B8
	v_mov_b32_e32 v29, v185                                    // 00000000A638: 7E3A03B9
	v_cvt_pkrtz_f16_f32 v168, v28, v29                         // 00000000A63C: D29600A8 00023B1C
	v_mov_b32_e32 v28, v186                                    // 00000000A644: 7E3803BA
	v_mov_b32_e32 v29, v187                                    // 00000000A648: 7E3A03BB
	v_cvt_pkrtz_f16_f32 v169, v28, v29                         // 00000000A64C: D29600A9 00023B1C
	v_mov_b32_e32 v28, v188                                    // 00000000A654: 7E3803BC
	v_mov_b32_e32 v29, v189                                    // 00000000A658: 7E3A03BD
	v_cvt_pkrtz_f16_f32 v170, v28, v29                         // 00000000A65C: D29600AA 00023B1C
	v_mov_b32_e32 v28, v190                                    // 00000000A664: 7E3803BE
	v_mov_b32_e32 v29, v191                                    // 00000000A668: 7E3A03BF
	v_cvt_pkrtz_f16_f32 v171, v28, v29                         // 00000000A66C: D29600AB 00023B1C
	v_mov_b32_e32 v28, v192                                    // 00000000A674: 7E3803C0
	v_mov_b32_e32 v29, v193                                    // 00000000A678: 7E3A03C1
	v_cvt_pkrtz_f16_f32 v172, v28, v29                         // 00000000A67C: D29600AC 00023B1C
	v_mov_b32_e32 v28, v194                                    // 00000000A684: 7E3803C2
	v_mov_b32_e32 v29, v195                                    // 00000000A688: 7E3A03C3
	v_cvt_pkrtz_f16_f32 v173, v28, v29                         // 00000000A68C: D29600AD 00023B1C
	v_mov_b32_e32 v28, v196                                    // 00000000A694: 7E3803C4
	v_mov_b32_e32 v29, v197                                    // 00000000A698: 7E3A03C5
	v_cvt_pkrtz_f16_f32 v174, v28, v29                         // 00000000A69C: D29600AE 00023B1C
	v_mov_b32_e32 v28, v198                                    // 00000000A6A4: 7E3803C6
	v_mov_b32_e32 v29, v199                                    // 00000000A6A8: 7E3A03C7
	v_cvt_pkrtz_f16_f32 v175, v28, v29                         // 00000000A6AC: D29600AF 00023B1C
	v_mov_b32_e32 v28, v200                                    // 00000000A6B4: 7E3803C8
	v_mov_b32_e32 v29, v201                                    // 00000000A6B8: 7E3A03C9
	v_cvt_pkrtz_f16_f32 v176, v28, v29                         // 00000000A6BC: D29600B0 00023B1C
	v_mov_b32_e32 v28, v202                                    // 00000000A6C4: 7E3803CA
	v_mov_b32_e32 v29, v203                                    // 00000000A6C8: 7E3A03CB
	v_cvt_pkrtz_f16_f32 v177, v28, v29                         // 00000000A6CC: D29600B1 00023B1C
	v_mov_b32_e32 v28, v204                                    // 00000000A6D4: 7E3803CC
	v_mov_b32_e32 v29, v205                                    // 00000000A6D8: 7E3A03CD
	v_cvt_pkrtz_f16_f32 v178, v28, v29                         // 00000000A6DC: D29600B2 00023B1C
	v_mov_b32_e32 v28, v206                                    // 00000000A6E4: 7E3803CE
	v_mov_b32_e32 v29, v207                                    // 00000000A6E8: 7E3A03CF
	v_cvt_pkrtz_f16_f32 v179, v28, v29                         // 00000000A6EC: D29600B3 00023B1C
	v_mov_b32_e32 v28, v208                                    // 00000000A6F4: 7E3803D0
	v_mov_b32_e32 v29, v209                                    // 00000000A6F8: 7E3A03D1
	v_cvt_pkrtz_f16_f32 v180, v28, v29                         // 00000000A6FC: D29600B4 00023B1C
	v_mov_b32_e32 v28, v210                                    // 00000000A704: 7E3803D2
	v_mov_b32_e32 v29, v211                                    // 00000000A708: 7E3A03D3
	v_cvt_pkrtz_f16_f32 v181, v28, v29                         // 00000000A70C: D29600B5 00023B1C
	v_mov_b32_e32 v28, v212                                    // 00000000A714: 7E3803D4
	v_mov_b32_e32 v29, v213                                    // 00000000A718: 7E3A03D5
	v_cvt_pkrtz_f16_f32 v182, v28, v29                         // 00000000A71C: D29600B6 00023B1C
	v_mov_b32_e32 v28, v214                                    // 00000000A724: 7E3803D6
	v_mov_b32_e32 v29, v215                                    // 00000000A728: 7E3A03D7
	v_cvt_pkrtz_f16_f32 v183, v28, v29                         // 00000000A72C: D29600B7 00023B1C
	ds_write_b64 v25, v[168:169] offset:16896                  // 00000000A734: D89A4200 0000A819
	ds_write_b64 v25, v[170:171] offset:17424                  // 00000000A73C: D89A4410 0000AA19
	ds_write_b64 v25, v[172:173] offset:17952                  // 00000000A744: D89A4620 0000AC19
	ds_write_b64 v25, v[174:175] offset:18480                  // 00000000A74C: D89A4830 0000AE19
	ds_write_b64 v25, v[176:177] offset:19008                  // 00000000A754: D89A4A40 0000B019
	ds_write_b64 v25, v[178:179] offset:19536                  // 00000000A75C: D89A4C50 0000B219
	ds_write_b64 v25, v[180:181] offset:20064                  // 00000000A764: D89A4E60 0000B419
	ds_write_b64 v25, v[182:183] offset:20592                  // 00000000A76C: D89A5070 0000B619
	s_waitcnt lgkmcnt(0)                                       // 00000000A774: BF8CC07F
	s_barrier                                                  // 00000000A778: BF8A0000
	ds_read_b64 v[168:169], v24 offset:16896                   // 00000000A77C: D8EC4200 A8000018
	ds_read_b64 v[170:171], v24 offset:17024                   // 00000000A784: D8EC4280 AA000018
	ds_read_b64 v[172:173], v24 offset:16928                   // 00000000A78C: D8EC4220 AC000018
	ds_read_b64 v[174:175], v24 offset:17056                   // 00000000A794: D8EC42A0 AE000018
	ds_read_b64 v[176:177], v24 offset:16960                   // 00000000A79C: D8EC4240 B0000018
	ds_read_b64 v[178:179], v24 offset:17088                   // 00000000A7A4: D8EC42C0 B2000018
	ds_read_b64 v[180:181], v24 offset:16992                   // 00000000A7AC: D8EC4260 B4000018
	ds_read_b64 v[182:183], v24 offset:17120                   // 00000000A7B4: D8EC42E0 B6000018
	s_waitcnt lgkmcnt(0)                                       // 00000000A7BC: BF8CC07F
	s_mov_b32 s70, s53                                         // 00000000A7C0: BEC60035
	s_mov_b64 exec, s[90:91]                                   // 00000000A7C4: BEFE015A
	buffer_store_dwordx4 v[168:171], v6, s[40:43], 0 idxen     // 00000000A7C8: E07C2000 800AA806
	s_mov_b32 exec_lo, -1                                      // 00000000A7D0: BEFE00C1
	s_mov_b32 exec_hi, -1                                      // 00000000A7D4: BEFF00C1
	v_add_u32_e32 v6, s70, v6                                  // 00000000A7D8: 680C0C46
	s_mov_b64 exec, s[90:91]                                   // 00000000A7DC: BEFE015A
	buffer_store_dwordx4 v[172:175], v6, s[40:43], 0 idxen     // 00000000A7E0: E07C2000 800AAC06
	s_mov_b32 exec_lo, -1                                      // 00000000A7E8: BEFE00C1
	s_mov_b32 exec_hi, -1                                      // 00000000A7EC: BEFF00C1
	v_add_u32_e32 v6, s70, v6                                  // 00000000A7F0: 680C0C46
	s_mov_b64 exec, s[90:91]                                   // 00000000A7F4: BEFE015A
	buffer_store_dwordx4 v[176:179], v6, s[40:43], 0 idxen     // 00000000A7F8: E07C2000 800AB006
	s_mov_b32 exec_lo, -1                                      // 00000000A800: BEFE00C1
	s_mov_b32 exec_hi, -1                                      // 00000000A804: BEFF00C1
	v_add_u32_e32 v6, s70, v6                                  // 00000000A808: 680C0C46
	s_mov_b64 exec, s[90:91]                                   // 00000000A80C: BEFE015A
	buffer_store_dwordx4 v[180:183], v6, s[40:43], 0 idxen     // 00000000A810: E07C2000 800AB406
	s_mov_b32 exec_lo, -1                                      // 00000000A818: BEFE00C1
	s_mov_b32 exec_hi, -1                                      // 00000000A81C: BEFF00C1
	v_add_u32_e32 v6, s70, v6                                  // 00000000A820: 680C0C46
	s_mul_i32 s60, 12, s70                                     // 00000000A824: 923C468C
	v_add_u32_e32 v6, s60, v6                                  // 00000000A828: 680C0C3C
	s_cmp_ge_i32 2, s72                                        // 00000000A82C: BF034882
	s_cbranch_scc1 label_1B21                                  // 00000000A830: BF850080
	v_mov_b32_e32 v28, v216                                    // 00000000A834: 7E3803D8
	v_mov_b32_e32 v29, v217                                    // 00000000A838: 7E3A03D9
	v_cvt_pkrtz_f16_f32 v184, v28, v29                         // 00000000A83C: D29600B8 00023B1C
	v_mov_b32_e32 v28, v218                                    // 00000000A844: 7E3803DA
	v_mov_b32_e32 v29, v219                                    // 00000000A848: 7E3A03DB
	v_cvt_pkrtz_f16_f32 v185, v28, v29                         // 00000000A84C: D29600B9 00023B1C
	v_mov_b32_e32 v28, v220                                    // 00000000A854: 7E3803DC
	v_mov_b32_e32 v29, v221                                    // 00000000A858: 7E3A03DD
	v_cvt_pkrtz_f16_f32 v186, v28, v29                         // 00000000A85C: D29600BA 00023B1C
	v_mov_b32_e32 v28, v222                                    // 00000000A864: 7E3803DE
	v_mov_b32_e32 v29, v223                                    // 00000000A868: 7E3A03DF
	v_cvt_pkrtz_f16_f32 v187, v28, v29                         // 00000000A86C: D29600BB 00023B1C
	v_mov_b32_e32 v28, v224                                    // 00000000A874: 7E3803E0
	v_mov_b32_e32 v29, v225                                    // 00000000A878: 7E3A03E1
	v_cvt_pkrtz_f16_f32 v188, v28, v29                         // 00000000A87C: D29600BC 00023B1C
	v_mov_b32_e32 v28, v226                                    // 00000000A884: 7E3803E2
	v_mov_b32_e32 v29, v227                                    // 00000000A888: 7E3A03E3
	v_cvt_pkrtz_f16_f32 v189, v28, v29                         // 00000000A88C: D29600BD 00023B1C
	v_mov_b32_e32 v28, v228                                    // 00000000A894: 7E3803E4
	v_mov_b32_e32 v29, v229                                    // 00000000A898: 7E3A03E5
	v_cvt_pkrtz_f16_f32 v190, v28, v29                         // 00000000A89C: D29600BE 00023B1C
	v_mov_b32_e32 v28, v230                                    // 00000000A8A4: 7E3803E6
	v_mov_b32_e32 v29, v231                                    // 00000000A8A8: 7E3A03E7
	v_cvt_pkrtz_f16_f32 v191, v28, v29                         // 00000000A8AC: D29600BF 00023B1C
	v_mov_b32_e32 v28, v232                                    // 00000000A8B4: 7E3803E8
	v_mov_b32_e32 v29, v233                                    // 00000000A8B8: 7E3A03E9
	v_cvt_pkrtz_f16_f32 v192, v28, v29                         // 00000000A8BC: D29600C0 00023B1C
	v_mov_b32_e32 v28, v234                                    // 00000000A8C4: 7E3803EA
	v_mov_b32_e32 v29, v235                                    // 00000000A8C8: 7E3A03EB
	v_cvt_pkrtz_f16_f32 v193, v28, v29                         // 00000000A8CC: D29600C1 00023B1C
	v_mov_b32_e32 v28, v236                                    // 00000000A8D4: 7E3803EC
	v_mov_b32_e32 v29, v237                                    // 00000000A8D8: 7E3A03ED
	v_cvt_pkrtz_f16_f32 v194, v28, v29                         // 00000000A8DC: D29600C2 00023B1C
	v_mov_b32_e32 v28, v238                                    // 00000000A8E4: 7E3803EE
	v_mov_b32_e32 v29, v239                                    // 00000000A8E8: 7E3A03EF
	v_cvt_pkrtz_f16_f32 v195, v28, v29                         // 00000000A8EC: D29600C3 00023B1C
	v_mov_b32_e32 v28, v240                                    // 00000000A8F4: 7E3803F0
	v_mov_b32_e32 v29, v241                                    // 00000000A8F8: 7E3A03F1
	v_cvt_pkrtz_f16_f32 v196, v28, v29                         // 00000000A8FC: D29600C4 00023B1C
	v_mov_b32_e32 v28, v242                                    // 00000000A904: 7E3803F2
	v_mov_b32_e32 v29, v243                                    // 00000000A908: 7E3A03F3
	v_cvt_pkrtz_f16_f32 v197, v28, v29                         // 00000000A90C: D29600C5 00023B1C
	v_mov_b32_e32 v28, v244                                    // 00000000A914: 7E3803F4
	v_mov_b32_e32 v29, v245                                    // 00000000A918: 7E3A03F5
	v_cvt_pkrtz_f16_f32 v198, v28, v29                         // 00000000A91C: D29600C6 00023B1C
	v_mov_b32_e32 v28, v246                                    // 00000000A924: 7E3803F6
	v_mov_b32_e32 v29, v247                                    // 00000000A928: 7E3A03F7
	v_cvt_pkrtz_f16_f32 v199, v28, v29                         // 00000000A92C: D29600C7 00023B1C
	ds_write_b64 v25, v[184:185] offset:33792                  // 00000000A934: D89A8400 0000B819
	ds_write_b64 v25, v[186:187] offset:34320                  // 00000000A93C: D89A8610 0000BA19
	ds_write_b64 v25, v[188:189] offset:34848                  // 00000000A944: D89A8820 0000BC19
	ds_write_b64 v25, v[190:191] offset:35376                  // 00000000A94C: D89A8A30 0000BE19
	ds_write_b64 v25, v[192:193] offset:35904                  // 00000000A954: D89A8C40 0000C019
	ds_write_b64 v25, v[194:195] offset:36432                  // 00000000A95C: D89A8E50 0000C219
	ds_write_b64 v25, v[196:197] offset:36960                  // 00000000A964: D89A9060 0000C419
	ds_write_b64 v25, v[198:199] offset:37488                  // 00000000A96C: D89A9270 0000C619
	s_waitcnt lgkmcnt(0)                                       // 00000000A974: BF8CC07F
	s_barrier                                                  // 00000000A978: BF8A0000
	ds_read_b64 v[184:185], v24 offset:33792                   // 00000000A97C: D8EC8400 B8000018
	ds_read_b64 v[186:187], v24 offset:33920                   // 00000000A984: D8EC8480 BA000018
	ds_read_b64 v[188:189], v24 offset:33824                   // 00000000A98C: D8EC8420 BC000018
	ds_read_b64 v[190:191], v24 offset:33952                   // 00000000A994: D8EC84A0 BE000018
	ds_read_b64 v[192:193], v24 offset:33856                   // 00000000A99C: D8EC8440 C0000018
	ds_read_b64 v[194:195], v24 offset:33984                   // 00000000A9A4: D8EC84C0 C2000018
	ds_read_b64 v[196:197], v24 offset:33888                   // 00000000A9AC: D8EC8460 C4000018
	ds_read_b64 v[198:199], v24 offset:34016                   // 00000000A9B4: D8EC84E0 C6000018
	s_waitcnt lgkmcnt(0)                                       // 00000000A9BC: BF8CC07F
	s_mov_b32 s70, s53                                         // 00000000A9C0: BEC60035
	s_mov_b64 exec, s[90:91]                                   // 00000000A9C4: BEFE015A
	buffer_store_dwordx4 v[184:187], v6, s[40:43], 0 idxen     // 00000000A9C8: E07C2000 800AB806
	s_mov_b32 exec_lo, -1                                      // 00000000A9D0: BEFE00C1
	s_mov_b32 exec_hi, -1                                      // 00000000A9D4: BEFF00C1
	v_add_u32_e32 v6, s70, v6                                  // 00000000A9D8: 680C0C46
	s_mov_b64 exec, s[90:91]                                   // 00000000A9DC: BEFE015A
	buffer_store_dwordx4 v[188:191], v6, s[40:43], 0 idxen     // 00000000A9E0: E07C2000 800ABC06
	s_mov_b32 exec_lo, -1                                      // 00000000A9E8: BEFE00C1
	s_mov_b32 exec_hi, -1                                      // 00000000A9EC: BEFF00C1
	v_add_u32_e32 v6, s70, v6                                  // 00000000A9F0: 680C0C46
	s_mov_b64 exec, s[90:91]                                   // 00000000A9F4: BEFE015A
	buffer_store_dwordx4 v[192:195], v6, s[40:43], 0 idxen     // 00000000A9F8: E07C2000 800AC006
	s_mov_b32 exec_lo, -1                                      // 00000000AA00: BEFE00C1
	s_mov_b32 exec_hi, -1                                      // 00000000AA04: BEFF00C1
	v_add_u32_e32 v6, s70, v6                                  // 00000000AA08: 680C0C46
	s_mov_b64 exec, s[90:91]                                   // 00000000AA0C: BEFE015A
	buffer_store_dwordx4 v[196:199], v6, s[40:43], 0 idxen     // 00000000AA10: E07C2000 800AC406
	s_mov_b32 exec_lo, -1                                      // 00000000AA18: BEFE00C1
	s_mov_b32 exec_hi, -1                                      // 00000000AA1C: BEFF00C1
	v_add_u32_e32 v6, s70, v6                                  // 00000000AA20: 680C0C46
	s_mul_i32 s60, 12, s70                                     // 00000000AA24: 923C468C
	v_add_u32_e32 v6, s60, v6                                  // 00000000AA28: 680C0C3C
	s_cmp_ge_i32 3, s72                                        // 00000000AA2C: BF034883
	s_cbranch_scc1 label_1B21                                  // 00000000AA30: BF850000

000000000000aa34 <label_1B21>:
	s_waitcnt vmcnt(0) expcnt(0) lgkmcnt(0)                    // 00000000AA34: BF8C0000
	s_sub_i32 s60, s77, 1                                      // 00000000AA38: 81BC814D
	s_sub_i32 s2, s60, s2                                      // 00000000AA3C: 8182023C
	s_addk_i32 s75, 0x1                                        // 00000000AA40: B74B0001
	s_cmp_lt_i32 s75, s76                                      // 00000000AA44: BF044C4B
	s_cbranch_scc1 label_015C                                  // 00000000AA48: BF85E649
	s_endpgm                                                   // 00000000AA4C: BF810000
